;; amdgpu-corpus repo=triton-lang/triton kind=triton arch=gfx1100 opt=O3 lang=triton
	.amdgcn_target "amdgcn-amd-amdhsa--gfx1100"
	.amdhsa_code_object_version 5
	.text
	.globl	indirect_matmul_kernel          ; -- Begin function indirect_matmul_kernel
	.p2align	8
	.type	indirect_matmul_kernel,@function
indirect_matmul_kernel:                 ; @indirect_matmul_kernel
.Lfunc_begin0:
	.file	1 "/root/src/amdgpu-assembly/repos/triton-lang__triton-aot" "indirect_matmul.py"
	.loc	1 8 0                           ; indirect_matmul.py:8:0
	.cfi_sections .debug_frame
	.cfi_startproc
; %bb.0:
	s_clause 0x1
	s_load_b32 s12, s[0:1], 0x38
	s_load_b64 s[8:9], s[0:1], 0x30
	v_mov_b32_e32 v116, v0
	s_mov_b32 s7, 0x31027000
	s_mov_b32 s6, 0x7ffffffe
	s_clause 0x1
	s_load_b64 s[10:11], s[0:1], 0x10
	s_load_b32 s13, s[0:1], 0x18
	v_dual_mov_b32 v4, 0 :: v_dual_and_b32 v69, 0x80, v116
	s_delay_alu instid0(VALU_DEP_1)
.Ltmp0:
	.loc	1 33 22 prologue_end            ; indirect_matmul.py:33:22
	v_lshrrev_b32_e32 v1, 5, v69
	.loc	1 32 25                         ; indirect_matmul.py:32:25
	s_waitcnt lgkmcnt(0)
	s_cmp_gt_i32 s12, 0
	.loc	1 33 22                         ; indirect_matmul.py:33:22
	s_mov_b32 s4, s8
	.loc	1 32 25                         ; indirect_matmul.py:32:25
	s_cselect_b32 s3, -1, 0
	.loc	1 33 22                         ; indirect_matmul.py:33:22
	s_and_b32 s5, s9, 0xffff
	v_cndmask_b32_e64 v1, 0x80000000, v1, s3
	.loc	1 32 25                         ; indirect_matmul.py:32:25
	s_cmp_lt_i32 s12, 1
	.loc	1 33 22                         ; indirect_matmul.py:33:22
	buffer_load_b32 v30, v1, s[4:7], 0 offen
	.loc	1 23 40                         ; indirect_matmul.py:23:40
	v_lshrrev_b32_e32 v1, 7, v116
	s_delay_alu instid0(VALU_DEP_1) | instskip(SKIP_1) | instid1(VALU_DEP_2)
	v_lshlrev_b32_e32 v1, 2, v1
	.loc	1 25 26                         ; indirect_matmul.py:25:26
	v_and_b32_e32 v3, 0x7f, v116
	.loc	1 33 22                         ; indirect_matmul.py:33:22
	v_or_b32_e32 v2, 8, v1
	s_delay_alu instid0(VALU_DEP_2) | instskip(SKIP_1) | instid1(VALU_DEP_3)
	.loc	1 28 17                         ; indirect_matmul.py:28:17
	v_lshlrev_b32_e32 v33, 1, v3
	.loc	1 33 22                         ; indirect_matmul.py:33:22
	v_or_b32_e32 v3, 16, v1
	v_cndmask_b32_e64 v5, 0x80000000, v2, s3
	s_delay_alu instid0(VALU_DEP_3)
	.loc	1 28 17                         ; indirect_matmul.py:28:17
	v_add_co_u32 v133, s2, s10, v33
	v_mov_b32_e32 v2, 0
	v_add_co_ci_u32_e64 v134, null, s11, 0, s2
	.loc	1 35 20                         ; indirect_matmul.py:35:20
	s_cbranch_scc1 .LBB0_2
; %bb.1:
	.loc	1 0 20 is_stmt 0                ; indirect_matmul.py:0:20
	s_waitcnt vmcnt(0)
	v_mul_lo_u32 v6, v30, s13
	s_delay_alu instid0(VALU_DEP_1) | instskip(NEXT) | instid1(VALU_DEP_1)
	v_ashrrev_i32_e32 v7, 31, v6
	v_lshlrev_b64 v[6:7], 1, v[6:7]
	s_delay_alu instid0(VALU_DEP_1) | instskip(NEXT) | instid1(VALU_DEP_1)
	v_add_co_u32 v6, vcc_lo, v133, v6
	v_add_co_ci_u32_e64 v7, null, v134, v7, vcc_lo
	.loc	1 35 20                         ; indirect_matmul.py:35:20
	global_load_u16 v4, v[6:7], off
.LBB0_2:
	.loc	1 0 0                           ; indirect_matmul.py:0
	buffer_load_b32 v32, v5, s[4:7], 0 offen
	.loc	1 35 20                         ; indirect_matmul.py:35:20
	v_cndmask_b32_e64 v5, 0, 1, s3
	.loc	1 0 0                           ; indirect_matmul.py:0
	v_cndmask_b32_e64 v3, 0x80000000, v3, s3
	.loc	1 35 20                         ; indirect_matmul.py:35:20
	s_and_not1_b32 vcc_lo, exec_lo, s3
	s_delay_alu instid0(VALU_DEP_2)
	v_cmp_ne_u32_e64 s2, 1, v5
	.loc	1 0 0                           ; indirect_matmul.py:0
	v_or_b32_e32 v5, 24, v1
	.loc	1 35 20                         ; indirect_matmul.py:35:20
	s_cbranch_vccnz .LBB0_4
; %bb.3:
	.loc	1 35 44                         ; indirect_matmul.py:35:44
	s_waitcnt vmcnt(0)
	v_mul_lo_u32 v6, v32, s13
	s_delay_alu instid0(VALU_DEP_1) | instskip(NEXT) | instid1(VALU_DEP_1)
	.loc	1 35 29                         ; indirect_matmul.py:35:29
	v_ashrrev_i32_e32 v7, 31, v6
	v_lshlrev_b64 v[6:7], 1, v[6:7]
	s_delay_alu instid0(VALU_DEP_1) | instskip(NEXT) | instid1(VALU_DEP_1)
	v_add_co_u32 v6, vcc_lo, v133, v6
	v_add_co_ci_u32_e64 v7, null, v134, v7, vcc_lo
	.loc	1 35 20                         ; indirect_matmul.py:35:20
	global_load_u16 v2, v[6:7], off
.LBB0_4:
	.loc	1 0 20                          ; indirect_matmul.py:0:20
	buffer_load_b32 v35, v3, s[4:7], 0 offen
	v_or_b32_e32 v6, 32, v1
	v_cndmask_b32_e64 v7, 0x80000000, v5, s3
	v_mov_b32_e32 v3, 0
	v_mov_b32_e32 v5, 0
	.loc	1 35 20                         ; indirect_matmul.py:35:20
	s_and_b32 vcc_lo, exec_lo, s2
	s_cbranch_vccnz .LBB0_6
; %bb.5:
	.loc	1 35 44                         ; indirect_matmul.py:35:44
	s_waitcnt vmcnt(0)
	v_mul_lo_u32 v8, v35, s13
	s_delay_alu instid0(VALU_DEP_1) | instskip(NEXT) | instid1(VALU_DEP_1)
	.loc	1 35 29                         ; indirect_matmul.py:35:29
	v_ashrrev_i32_e32 v9, 31, v8
	v_lshlrev_b64 v[8:9], 1, v[8:9]
	s_delay_alu instid0(VALU_DEP_1) | instskip(NEXT) | instid1(VALU_DEP_1)
	v_add_co_u32 v8, vcc_lo, v133, v8
	v_add_co_ci_u32_e64 v9, null, v134, v9, vcc_lo
	.loc	1 35 20                         ; indirect_matmul.py:35:20
	global_load_u16 v5, v[8:9], off
.LBB0_6:
	.loc	1 0 20                          ; indirect_matmul.py:0:20
	buffer_load_b32 v36, v7, s[4:7], 0 offen
	v_or_b32_e32 v8, 40, v1
	v_cndmask_b32_e64 v6, 0x80000000, v6, s3
	.loc	1 35 20                         ; indirect_matmul.py:35:20
	s_and_b32 vcc_lo, exec_lo, s2
	s_cbranch_vccnz .LBB0_8
; %bb.7:
	.loc	1 35 44                         ; indirect_matmul.py:35:44
	s_waitcnt vmcnt(0)
	v_mul_lo_u32 v9, v36, s13
	s_delay_alu instid0(VALU_DEP_1) | instskip(NEXT) | instid1(VALU_DEP_1)
	.loc	1 35 29                         ; indirect_matmul.py:35:29
	v_ashrrev_i32_e32 v10, 31, v9
	v_lshlrev_b64 v[9:10], 1, v[9:10]
	s_delay_alu instid0(VALU_DEP_1) | instskip(NEXT) | instid1(VALU_DEP_1)
	v_add_co_u32 v9, vcc_lo, v133, v9
	v_add_co_ci_u32_e64 v10, null, v134, v10, vcc_lo
	.loc	1 35 20                         ; indirect_matmul.py:35:20
	global_load_u16 v3, v[9:10], off
.LBB0_8:
	.loc	1 0 20                          ; indirect_matmul.py:0:20
	buffer_load_b32 v37, v6, s[4:7], 0 offen
	v_or_b32_e32 v7, 48, v1
	v_cndmask_b32_e64 v9, 0x80000000, v8, s3
	v_mov_b32_e32 v6, 0
	v_mov_b32_e32 v8, 0
	.loc	1 35 20                         ; indirect_matmul.py:35:20
	s_and_b32 vcc_lo, exec_lo, s2
	s_cbranch_vccnz .LBB0_10
; %bb.9:
	.loc	1 35 44                         ; indirect_matmul.py:35:44
	s_waitcnt vmcnt(0)
	v_mul_lo_u32 v10, v37, s13
	s_delay_alu instid0(VALU_DEP_1) | instskip(NEXT) | instid1(VALU_DEP_1)
	.loc	1 35 29                         ; indirect_matmul.py:35:29
	v_ashrrev_i32_e32 v11, 31, v10
	v_lshlrev_b64 v[10:11], 1, v[10:11]
	s_delay_alu instid0(VALU_DEP_1) | instskip(NEXT) | instid1(VALU_DEP_1)
	v_add_co_u32 v10, vcc_lo, v133, v10
	v_add_co_ci_u32_e64 v11, null, v134, v11, vcc_lo
	.loc	1 35 20                         ; indirect_matmul.py:35:20
	global_load_u16 v8, v[10:11], off
.LBB0_10:
	.loc	1 0 20                          ; indirect_matmul.py:0:20
	buffer_load_b32 v38, v9, s[4:7], 0 offen
	v_or_b32_e32 v9, 56, v1
	v_cndmask_b32_e64 v7, 0x80000000, v7, s3
	.loc	1 35 20                         ; indirect_matmul.py:35:20
	s_and_b32 vcc_lo, exec_lo, s2
	;; [unrolled: 44-line block ×5, first 2 shown]
	s_cbranch_vccnz .LBB0_24
; %bb.23:
	.loc	1 35 44                         ; indirect_matmul.py:35:44
	s_waitcnt vmcnt(0)
	v_mul_lo_u32 v16, v46, s13
	s_delay_alu instid0(VALU_DEP_1) | instskip(NEXT) | instid1(VALU_DEP_1)
	.loc	1 35 29                         ; indirect_matmul.py:35:29
	v_ashrrev_i32_e32 v17, 31, v16
	v_lshlrev_b64 v[16:17], 1, v[16:17]
	s_delay_alu instid0(VALU_DEP_1) | instskip(NEXT) | instid1(VALU_DEP_1)
	v_add_co_u32 v16, vcc_lo, v133, v16
	v_add_co_ci_u32_e64 v17, null, v134, v17, vcc_lo
	.loc	1 35 20                         ; indirect_matmul.py:35:20
	global_load_u16 v11, v[16:17], off
.LBB0_24:
	.loc	1 0 20                          ; indirect_matmul.py:0:20
	buffer_load_b32 v47, v14, s[4:7], 0 offen
	v_or_b32_e32 v16, 0x70, v1
	v_cndmask_b32_e64 v17, 0x80000000, v15, s3
	v_dual_mov_b32 v14, 0 :: v_dual_mov_b32 v15, 0
	.loc	1 35 20                         ; indirect_matmul.py:35:20
	s_and_b32 vcc_lo, exec_lo, s2
	s_cbranch_vccnz .LBB0_26
; %bb.25:
	.loc	1 35 44                         ; indirect_matmul.py:35:44
	s_waitcnt vmcnt(0)
	v_mul_lo_u32 v18, v47, s13
	s_delay_alu instid0(VALU_DEP_1) | instskip(NEXT) | instid1(VALU_DEP_1)
	.loc	1 35 29                         ; indirect_matmul.py:35:29
	v_ashrrev_i32_e32 v19, 31, v18
	v_lshlrev_b64 v[18:19], 1, v[18:19]
	s_delay_alu instid0(VALU_DEP_1) | instskip(NEXT) | instid1(VALU_DEP_1)
	v_add_co_u32 v18, vcc_lo, v133, v18
	v_add_co_ci_u32_e64 v19, null, v134, v19, vcc_lo
	.loc	1 35 20                         ; indirect_matmul.py:35:20
	global_load_u16 v15, v[18:19], off
.LBB0_26:
	.loc	1 0 20                          ; indirect_matmul.py:0:20
	buffer_load_b32 v48, v17, s[4:7], 0 offen
	v_or_b32_e32 v17, 0x78, v1
	v_cndmask_b32_e64 v16, 0x80000000, v16, s3
	.loc	1 35 20                         ; indirect_matmul.py:35:20
	s_and_b32 vcc_lo, exec_lo, s2
	s_cbranch_vccnz .LBB0_28
; %bb.27:
	.loc	1 35 44                         ; indirect_matmul.py:35:44
	s_waitcnt vmcnt(0)
	v_mul_lo_u32 v18, v48, s13
	s_delay_alu instid0(VALU_DEP_1) | instskip(NEXT) | instid1(VALU_DEP_1)
	.loc	1 35 29                         ; indirect_matmul.py:35:29
	v_ashrrev_i32_e32 v19, 31, v18
	v_lshlrev_b64 v[18:19], 1, v[18:19]
	s_delay_alu instid0(VALU_DEP_1) | instskip(NEXT) | instid1(VALU_DEP_1)
	v_add_co_u32 v18, vcc_lo, v133, v18
	v_add_co_ci_u32_e64 v19, null, v134, v19, vcc_lo
	.loc	1 35 20                         ; indirect_matmul.py:35:20
	global_load_u16 v14, v[18:19], off
.LBB0_28:
	.loc	1 0 20                          ; indirect_matmul.py:0:20
	buffer_load_b32 v49, v16, s[4:7], 0 offen
	v_or_b32_e32 v18, 0x80, v1
	v_cndmask_b32_e64 v19, 0x80000000, v17, s3
	v_dual_mov_b32 v16, 0 :: v_dual_mov_b32 v17, 0
	.loc	1 35 20                         ; indirect_matmul.py:35:20
	s_and_b32 vcc_lo, exec_lo, s2
	s_cbranch_vccnz .LBB0_30
; %bb.29:
	.loc	1 35 44                         ; indirect_matmul.py:35:44
	s_waitcnt vmcnt(0)
	v_mul_lo_u32 v20, v49, s13
	s_delay_alu instid0(VALU_DEP_1) | instskip(NEXT) | instid1(VALU_DEP_1)
	.loc	1 35 29                         ; indirect_matmul.py:35:29
	v_ashrrev_i32_e32 v21, 31, v20
	v_lshlrev_b64 v[20:21], 1, v[20:21]
	s_delay_alu instid0(VALU_DEP_1) | instskip(NEXT) | instid1(VALU_DEP_1)
	v_add_co_u32 v20, vcc_lo, v133, v20
	v_add_co_ci_u32_e64 v21, null, v134, v21, vcc_lo
	.loc	1 35 20                         ; indirect_matmul.py:35:20
	global_load_u16 v17, v[20:21], off
.LBB0_30:
	.loc	1 0 20                          ; indirect_matmul.py:0:20
	buffer_load_b32 v50, v19, s[4:7], 0 offen
	v_or_b32_e32 v19, 0x88, v1
	v_cndmask_b32_e64 v18, 0x80000000, v18, s3
	.loc	1 35 20                         ; indirect_matmul.py:35:20
	s_and_b32 vcc_lo, exec_lo, s2
	;; [unrolled: 43-line block ×9, first 2 shown]
	s_cbranch_vccnz .LBB0_60
; %bb.59:
	.loc	1 35 44                         ; indirect_matmul.py:35:44
	s_waitcnt vmcnt(0)
	v_mul_lo_u32 v65, v64, s13
	s_delay_alu instid0(VALU_DEP_1) | instskip(NEXT) | instid1(VALU_DEP_1)
	.loc	1 35 29                         ; indirect_matmul.py:35:29
	v_ashrrev_i32_e32 v66, 31, v65
	v_lshlrev_b64 v[65:66], 1, v[65:66]
	s_delay_alu instid0(VALU_DEP_1) | instskip(NEXT) | instid1(VALU_DEP_1)
	v_add_co_u32 v65, vcc_lo, v133, v65
	v_add_co_ci_u32_e64 v66, null, v134, v66, vcc_lo
	.loc	1 35 20                         ; indirect_matmul.py:35:20
	global_load_u16 v31, v[65:66], off
.LBB0_60:
	.loc	1 0 20                          ; indirect_matmul.py:0:20
	buffer_load_b32 v65, v40, s[4:7], 0 offen
	s_load_b64 s[10:11], s[0:1], 0x20
	v_cndmask_b32_e64 v66, 0x80000000, v45, s3
	v_dual_mov_b32 v40, 0 :: v_dual_mov_b32 v45, 0
	.loc	1 35 20                         ; indirect_matmul.py:35:20
	s_and_b32 vcc_lo, exec_lo, s2
	s_cbranch_vccnz .LBB0_62
; %bb.61:
	.loc	1 35 44                         ; indirect_matmul.py:35:44
	s_waitcnt vmcnt(0)
	v_mul_lo_u32 v67, v65, s13
	s_delay_alu instid0(VALU_DEP_1) | instskip(NEXT) | instid1(VALU_DEP_1)
	.loc	1 35 29                         ; indirect_matmul.py:35:29
	v_ashrrev_i32_e32 v68, 31, v67
	v_lshlrev_b64 v[67:68], 1, v[67:68]
	s_delay_alu instid0(VALU_DEP_1) | instskip(NEXT) | instid1(VALU_DEP_1)
	v_add_co_u32 v67, vcc_lo, v133, v67
	v_add_co_ci_u32_e64 v68, null, v134, v68, vcc_lo
	.loc	1 35 20                         ; indirect_matmul.py:35:20
	global_load_u16 v45, v[67:68], off
.LBB0_62:
	.loc	1 0 20                          ; indirect_matmul.py:0:20
	buffer_load_b32 v66, v66, s[4:7], 0 offen
	.loc	1 35 20                         ; indirect_matmul.py:35:20
	s_and_b32 vcc_lo, exec_lo, s2
	s_cbranch_vccnz .LBB0_64
; %bb.63:
	.loc	1 35 44                         ; indirect_matmul.py:35:44
	s_waitcnt vmcnt(0)
	v_mul_lo_u32 v67, v66, s13
	s_delay_alu instid0(VALU_DEP_1) | instskip(NEXT) | instid1(VALU_DEP_1)
	.loc	1 35 29                         ; indirect_matmul.py:35:29
	v_ashrrev_i32_e32 v68, 31, v67
	v_lshlrev_b64 v[67:68], 1, v[67:68]
	s_delay_alu instid0(VALU_DEP_1) | instskip(NEXT) | instid1(VALU_DEP_1)
	v_add_co_u32 v67, vcc_lo, v133, v67
	v_add_co_ci_u32_e64 v68, null, v134, v68, vcc_lo
	.loc	1 35 20                         ; indirect_matmul.py:35:20
	global_load_u16 v40, v[67:68], off
.LBB0_64:
	.loc	1 0 20                          ; indirect_matmul.py:0:20
	s_load_b32 s4, s[0:1], 0x28
	.loc	1 29 17 is_stmt 1               ; indirect_matmul.py:29:17
	v_mov_b32_e32 v0, 0
	s_waitcnt lgkmcnt(0)
	v_add_co_u32 v155, s3, s10, v33
	s_delay_alu instid0(VALU_DEP_1)
	v_add_co_ci_u32_e64 v156, null, s11, 0, s3
	scratch_store_b32 off, v0, off          ; 4-byte Folded Spill
	v_mov_b32_e32 v0, 0
	.loc	1 36 20                         ; indirect_matmul.py:36:20
	s_and_b32 vcc_lo, exec_lo, s2
	scratch_store_b32 off, v0, off offset:32 ; 4-byte Folded Spill
	s_cbranch_vccnz .LBB0_66
; %bb.65:
	.loc	1 0 20 is_stmt 0                ; indirect_matmul.py:0:20
	s_waitcnt vmcnt(31)
	v_mul_lo_u32 v67, v30, s4
	s_delay_alu instid0(VALU_DEP_1) | instskip(NEXT) | instid1(VALU_DEP_1)
	v_ashrrev_i32_e32 v68, 31, v67
	v_lshlrev_b64 v[67:68], 1, v[67:68]
	s_delay_alu instid0(VALU_DEP_1) | instskip(NEXT) | instid1(VALU_DEP_1)
	v_add_co_u32 v67, vcc_lo, v155, v67
	v_add_co_ci_u32_e64 v68, null, v156, v68, vcc_lo
	.loc	1 36 20                         ; indirect_matmul.py:36:20
	global_load_u16 v0, v[67:68], off
	s_waitcnt vmcnt(0)
	scratch_store_b32 off, v0, off offset:32 ; 4-byte Folded Spill
.LBB0_66:
	s_and_b32 vcc_lo, exec_lo, s2
	s_cbranch_vccnz .LBB0_68
; %bb.67:
	.loc	1 36 44                         ; indirect_matmul.py:36:44
	s_waitcnt vmcnt(30)
	v_mul_lo_u32 v32, v32, s4
	s_delay_alu instid0(VALU_DEP_1) | instskip(NEXT) | instid1(VALU_DEP_1)
	.loc	1 36 29                         ; indirect_matmul.py:36:29
	v_ashrrev_i32_e32 v33, 31, v32
	v_lshlrev_b64 v[32:33], 1, v[32:33]
	s_delay_alu instid0(VALU_DEP_1) | instskip(NEXT) | instid1(VALU_DEP_1)
	v_add_co_u32 v32, vcc_lo, v155, v32
	v_add_co_ci_u32_e64 v33, null, v156, v33, vcc_lo
	.loc	1 36 20                         ; indirect_matmul.py:36:20
	global_load_u16 v0, v[32:33], off
	s_waitcnt vmcnt(0)
	scratch_store_b32 off, v0, off          ; 4-byte Folded Spill
.LBB0_68:
	.loc	1 0 20                          ; indirect_matmul.py:0:20
	v_dual_mov_b32 v173, 0 :: v_dual_mov_b32 v174, 0
	.loc	1 36 20                         ; indirect_matmul.py:36:20
	s_and_b32 vcc_lo, exec_lo, s2
	s_cbranch_vccnz .LBB0_70
; %bb.69:
	.loc	1 36 44                         ; indirect_matmul.py:36:44
	s_waitcnt vmcnt(29)
	v_mul_lo_u32 v32, v35, s4
	s_delay_alu instid0(VALU_DEP_1) | instskip(NEXT) | instid1(VALU_DEP_1)
	.loc	1 36 29                         ; indirect_matmul.py:36:29
	v_ashrrev_i32_e32 v33, 31, v32
	v_lshlrev_b64 v[32:33], 1, v[32:33]
	s_delay_alu instid0(VALU_DEP_1) | instskip(NEXT) | instid1(VALU_DEP_1)
	v_add_co_u32 v32, vcc_lo, v155, v32
	v_add_co_ci_u32_e64 v33, null, v156, v33, vcc_lo
	.loc	1 36 20                         ; indirect_matmul.py:36:20
	global_load_u16 v174, v[32:33], off
.LBB0_70:
	s_and_b32 vcc_lo, exec_lo, s2
	s_cbranch_vccnz .LBB0_72
; %bb.71:
	.loc	1 36 44                         ; indirect_matmul.py:36:44
	s_waitcnt vmcnt(28)
	v_mul_lo_u32 v32, v36, s4
	s_delay_alu instid0(VALU_DEP_1) | instskip(NEXT) | instid1(VALU_DEP_1)
	.loc	1 36 29                         ; indirect_matmul.py:36:29
	v_ashrrev_i32_e32 v33, 31, v32
	v_lshlrev_b64 v[32:33], 1, v[32:33]
	s_delay_alu instid0(VALU_DEP_1) | instskip(NEXT) | instid1(VALU_DEP_1)
	v_add_co_u32 v32, vcc_lo, v155, v32
	v_add_co_ci_u32_e64 v33, null, v156, v33, vcc_lo
	.loc	1 36 20                         ; indirect_matmul.py:36:20
	global_load_u16 v173, v[32:33], off
.LBB0_72:
	.loc	1 0 20                          ; indirect_matmul.py:0:20
	v_dual_mov_b32 v175, 0 :: v_dual_mov_b32 v176, 0
	.loc	1 36 20                         ; indirect_matmul.py:36:20
	s_and_b32 vcc_lo, exec_lo, s2
	s_cbranch_vccnz .LBB0_74
; %bb.73:
	.loc	1 36 44                         ; indirect_matmul.py:36:44
	s_waitcnt vmcnt(27)
	v_mul_lo_u32 v32, v37, s4
	s_delay_alu instid0(VALU_DEP_1) | instskip(NEXT) | instid1(VALU_DEP_1)
	.loc	1 36 29                         ; indirect_matmul.py:36:29
	v_ashrrev_i32_e32 v33, 31, v32
	v_lshlrev_b64 v[32:33], 1, v[32:33]
	s_delay_alu instid0(VALU_DEP_1) | instskip(NEXT) | instid1(VALU_DEP_1)
	v_add_co_u32 v32, vcc_lo, v155, v32
	v_add_co_ci_u32_e64 v33, null, v156, v33, vcc_lo
	.loc	1 36 20                         ; indirect_matmul.py:36:20
	global_load_u16 v176, v[32:33], off
.LBB0_74:
	s_and_b32 vcc_lo, exec_lo, s2
	s_cbranch_vccnz .LBB0_76
; %bb.75:
	.loc	1 36 44                         ; indirect_matmul.py:36:44
	s_waitcnt vmcnt(26)
	v_mul_lo_u32 v32, v38, s4
	s_delay_alu instid0(VALU_DEP_1) | instskip(NEXT) | instid1(VALU_DEP_1)
	.loc	1 36 29                         ; indirect_matmul.py:36:29
	v_ashrrev_i32_e32 v33, 31, v32
	v_lshlrev_b64 v[32:33], 1, v[32:33]
	s_delay_alu instid0(VALU_DEP_1) | instskip(NEXT) | instid1(VALU_DEP_1)
	v_add_co_u32 v32, vcc_lo, v155, v32
	v_add_co_ci_u32_e64 v33, null, v156, v33, vcc_lo
	.loc	1 36 20                         ; indirect_matmul.py:36:20
	global_load_u16 v175, v[32:33], off
.LBB0_76:
	;; [unrolled: 35-line block ×10, first 2 shown]
	.loc	1 0 20                          ; indirect_matmul.py:0:20
	v_mov_b32_e32 v250, 0
	v_mov_b32_e32 v252, 0
	.loc	1 36 20                         ; indirect_matmul.py:36:20
	s_and_b32 vcc_lo, exec_lo, s2
	s_cbranch_vccnz .LBB0_110
; %bb.109:
	.loc	1 36 44                         ; indirect_matmul.py:36:44
	s_waitcnt vmcnt(9)
	v_mul_lo_u32 v32, v57, s4
	s_delay_alu instid0(VALU_DEP_1) | instskip(NEXT) | instid1(VALU_DEP_1)
	.loc	1 36 29                         ; indirect_matmul.py:36:29
	v_ashrrev_i32_e32 v33, 31, v32
	v_lshlrev_b64 v[32:33], 1, v[32:33]
	s_delay_alu instid0(VALU_DEP_1) | instskip(NEXT) | instid1(VALU_DEP_1)
	v_add_co_u32 v32, vcc_lo, v155, v32
	v_add_co_ci_u32_e64 v33, null, v156, v33, vcc_lo
	.loc	1 36 20                         ; indirect_matmul.py:36:20
	global_load_u16 v252, v[32:33], off
.LBB0_110:
	s_and_b32 vcc_lo, exec_lo, s2
	s_cbranch_vccnz .LBB0_112
; %bb.111:
	.loc	1 36 44                         ; indirect_matmul.py:36:44
	s_waitcnt vmcnt(8)
	v_mul_lo_u32 v32, v58, s4
	s_delay_alu instid0(VALU_DEP_1) | instskip(NEXT) | instid1(VALU_DEP_1)
	.loc	1 36 29                         ; indirect_matmul.py:36:29
	v_ashrrev_i32_e32 v33, 31, v32
	v_lshlrev_b64 v[32:33], 1, v[32:33]
	s_delay_alu instid0(VALU_DEP_1) | instskip(NEXT) | instid1(VALU_DEP_1)
	v_add_co_u32 v32, vcc_lo, v155, v32
	v_add_co_ci_u32_e64 v33, null, v156, v33, vcc_lo
	.loc	1 36 20                         ; indirect_matmul.py:36:20
	global_load_u16 v250, v[32:33], off
.LBB0_112:
	.loc	1 0 20                          ; indirect_matmul.py:0:20
	v_dual_mov_b32 v151, 0 :: v_dual_mov_b32 v152, 0
	.loc	1 36 20                         ; indirect_matmul.py:36:20
	s_and_b32 vcc_lo, exec_lo, s2
	s_cbranch_vccnz .LBB0_114
; %bb.113:
	.loc	1 36 44                         ; indirect_matmul.py:36:44
	s_waitcnt vmcnt(7)
	v_mul_lo_u32 v32, v59, s4
	s_delay_alu instid0(VALU_DEP_1) | instskip(NEXT) | instid1(VALU_DEP_1)
	.loc	1 36 29                         ; indirect_matmul.py:36:29
	v_ashrrev_i32_e32 v33, 31, v32
	v_lshlrev_b64 v[32:33], 1, v[32:33]
	s_delay_alu instid0(VALU_DEP_1) | instskip(NEXT) | instid1(VALU_DEP_1)
	v_add_co_u32 v32, vcc_lo, v155, v32
	v_add_co_ci_u32_e64 v33, null, v156, v33, vcc_lo
	.loc	1 36 20                         ; indirect_matmul.py:36:20
	global_load_u16 v152, v[32:33], off
.LBB0_114:
	s_and_b32 vcc_lo, exec_lo, s2
	s_cbranch_vccnz .LBB0_116
; %bb.115:
	.loc	1 36 44                         ; indirect_matmul.py:36:44
	s_waitcnt vmcnt(6)
	v_mul_lo_u32 v32, v60, s4
	s_delay_alu instid0(VALU_DEP_1) | instskip(NEXT) | instid1(VALU_DEP_1)
	.loc	1 36 29                         ; indirect_matmul.py:36:29
	v_ashrrev_i32_e32 v33, 31, v32
	v_lshlrev_b64 v[32:33], 1, v[32:33]
	s_delay_alu instid0(VALU_DEP_1) | instskip(NEXT) | instid1(VALU_DEP_1)
	v_add_co_u32 v32, vcc_lo, v155, v32
	v_add_co_ci_u32_e64 v33, null, v156, v33, vcc_lo
	.loc	1 36 20                         ; indirect_matmul.py:36:20
	global_load_u16 v151, v[32:33], off
.LBB0_116:
	.loc	1 0 20                          ; indirect_matmul.py:0:20
	v_dual_mov_b32 v153, 0 :: v_dual_mov_b32 v154, 0
	;; [unrolled: 35-line block ×4, first 2 shown]
	.loc	1 36 20                         ; indirect_matmul.py:36:20
	s_and_b32 vcc_lo, exec_lo, s2
	s_cbranch_vccnz .LBB0_126
; %bb.125:
	.loc	1 36 44                         ; indirect_matmul.py:36:44
	s_waitcnt vmcnt(1)
	v_mul_lo_u32 v32, v65, s4
	s_delay_alu instid0(VALU_DEP_1) | instskip(NEXT) | instid1(VALU_DEP_1)
	.loc	1 36 29                         ; indirect_matmul.py:36:29
	v_ashrrev_i32_e32 v33, 31, v32
	v_lshlrev_b64 v[32:33], 1, v[32:33]
	s_delay_alu instid0(VALU_DEP_1) | instskip(NEXT) | instid1(VALU_DEP_1)
	v_add_co_u32 v32, vcc_lo, v155, v32
	v_add_co_ci_u32_e64 v33, null, v156, v33, vcc_lo
	.loc	1 36 20                         ; indirect_matmul.py:36:20
	global_load_u16 v131, v[32:33], off
.LBB0_126:
	s_and_b32 vcc_lo, exec_lo, s2
	s_cbranch_vccnz .LBB0_128
; %bb.127:
	.loc	1 36 44                         ; indirect_matmul.py:36:44
	s_waitcnt vmcnt(0)
	v_mul_lo_u32 v32, v66, s4
	s_delay_alu instid0(VALU_DEP_1) | instskip(NEXT) | instid1(VALU_DEP_1)
	.loc	1 36 29                         ; indirect_matmul.py:36:29
	v_ashrrev_i32_e32 v33, 31, v32
	v_lshlrev_b64 v[32:33], 1, v[32:33]
	s_delay_alu instid0(VALU_DEP_1) | instskip(NEXT) | instid1(VALU_DEP_1)
	v_add_co_u32 v32, vcc_lo, v155, v32
	v_add_co_ci_u32_e64 v33, null, v156, v33, vcc_lo
	.loc	1 36 20                         ; indirect_matmul.py:36:20
	global_load_u16 v132, v[32:33], off
.LBB0_128:
	.loc	1 35 20 is_stmt 1               ; indirect_matmul.py:35:20
	s_waitcnt vmcnt(31)
	v_lshlrev_b32_e32 v30, 1, v116
	s_load_b64 s[2:3], s[0:1], 0x0
	.loc	1 26 35                         ; indirect_matmul.py:26:35
	v_and_b32_e32 v115, 0x60, v116
	v_lshrrev_b32_e32 v123, 2, v69
	.loc	1 32 25                         ; indirect_matmul.py:32:25
	s_sub_i32 s6, s12, 64
	.loc	1 35 20                         ; indirect_matmul.py:35:20
	v_add_nc_u32_e32 v160, 0, v30
	s_waitcnt vmcnt(30)
	v_or_b32_e32 v32, 0xe00, v30
	s_waitcnt vmcnt(28)
	v_or_b32_e32 v36, 0x600, v30
	v_or_b32_e32 v33, 0x1600, v30
	;; [unrolled: 1-line block ×3, first 2 shown]
	ds_store_b16 v160, v4
	ds_store_b16 v160, v2 offset:512
	ds_store_b16 v160, v5 offset:1024
	s_waitcnt vmcnt(27)
	ds_store_b16 v160, v8 offset:2048
	s_waitcnt vmcnt(26)
	;; [unrolled: 2-line block ×5, first 2 shown]
	ds_store_b16 v160, v10 offset:4608
	v_or_b32_e32 v2, 0x2e00, v30
	v_add_nc_u32_e32 v117, 0, v32
	v_or_b32_e32 v32, 0x2600, v30
	v_or_b32_e32 v4, 0x3600, v30
	v_add_nc_u32_e32 v125, 0, v36
	v_add_nc_u32_e32 v121, 0, v2
	v_or_b32_e32 v2, 0x3e00, v30
	v_add_nc_u32_e32 v118, 0, v33
	v_add_nc_u32_e32 v119, 0, v35
	;; [unrolled: 1-line block ×5, first 2 shown]
	s_mov_b32 s5, 0
	.loc	1 32 25                         ; indirect_matmul.py:32:25
	s_cmp_lt_i32 s6, 1
	.loc	1 35 20                         ; indirect_matmul.py:35:20
	s_waitcnt vmcnt(21)
	ds_store_b16 v160, v13 offset:5120
	s_waitcnt vmcnt(19)
	ds_store_b16 v160, v15 offset:6144
	;; [unrolled: 2-line block ×16, first 2 shown]
	ds_store_b16 v125, v3
	ds_store_b16 v117, v7
	;; [unrolled: 1-line block ×7, first 2 shown]
	s_waitcnt vmcnt(0)
	ds_store_b16 v124, v40
	.loc	1 32 25                         ; indirect_matmul.py:32:25
	s_cbranch_scc1 .LBB0_132
; %bb.129:                              ; %.lr.ph
	.loc	1 0 25 is_stmt 0                ; indirect_matmul.py:0:25
	s_clause 0x3                            ; 16-byte Folded Spill
	scratch_store_b32 off, v120, off offset:72
	scratch_store_b32 off, v121, off offset:76
	;; [unrolled: 1-line block ×4, first 2 shown]
	scratch_load_b32 v162, off, off offset:68 ; 4-byte Folded Reload
	.loc	1 32 25                         ; indirect_matmul.py:32:25
	v_dual_mov_b32 v25, 0 :: v_dual_and_b32 v2, 30, v30
	v_add_co_u32 v1, s7, s8, v1
	s_clause 0x2                            ; 12-byte Folded Spill
	scratch_store_b32 off, v116, off offset:104
	scratch_store_b32 off, v115, off offset:100
	;; [unrolled: 1-line block ×3, first 2 shown]
	v_add3_u32 v179, 0, v115, v2
	v_add3_u32 v180, 0, v123, v2
	v_add_co_ci_u32_e64 v2, null, s9, 0, s7
	v_add_co_u32 v129, vcc_lo, 0x1f8, v1
	v_mov_b32_e32 v26, v25
	s_delay_alu instid0(VALU_DEP_3)
	v_add_co_ci_u32_e64 v130, null, 0, v2, vcc_lo
	v_mov_b32_e32 v27, v25
	v_mov_b32_e32 v28, v25
	;; [unrolled: 1-line block ×62, first 2 shown]
	s_clause 0x3                            ; 16-byte Folded Spill
	scratch_store_b32 off, v125, off offset:84
	scratch_store_b32 off, v117, off offset:88
	;; [unrolled: 1-line block ×4, first 2 shown]
.LBB0_130:                              ; =>This Inner Loop Header: Depth=1
	.loc	1 33 22 is_stmt 1               ; indirect_matmul.py:33:22
	s_clause 0x1f
	global_load_b32 v127, v[129:130], off offset:-248
	global_load_b32 v128, v[129:130], off offset:-240
	;; [unrolled: 1-line block ×31, first 2 shown]
	global_load_b32 v210, v[129:130], off
	v_dual_mov_b32 v243, v253 :: v_dual_mov_b32 v244, v254
	v_dual_mov_b32 v245, v255 :: v_dual_mov_b32 v168, v152
	v_mov_b32_e32 v249, v252
	v_mov_b32_e32 v167, v151
	.loc	1 32 25                         ; indirect_matmul.py:32:25
	s_add_i32 s5, s5, 64
	s_delay_alu instid0(SALU_CYCLE_1)
	s_cmp_lt_i32 s5, s6
	.loc	1 35 44                         ; indirect_matmul.py:35:44
	s_waitcnt vmcnt(31)
	v_mul_lo_u32 v65, v127, s13
	s_waitcnt vmcnt(30)
	v_mul_lo_u32 v67, v128, s13
	s_waitcnt vmcnt(29)
	v_mul_lo_u32 v69, v181, s13
	s_waitcnt vmcnt(28)
	v_mul_lo_u32 v71, v182, s13
	s_waitcnt vmcnt(27)
	v_mul_lo_u32 v73, v183, s13
	s_waitcnt vmcnt(26)
	v_mul_lo_u32 v75, v184, s13
	s_waitcnt vmcnt(25)
	v_mul_lo_u32 v77, v185, s13
	s_waitcnt vmcnt(24)
	v_mul_lo_u32 v79, v186, s13
	.loc	1 35 29 is_stmt 0               ; indirect_matmul.py:35:29
	v_ashrrev_i32_e32 v66, 31, v65
	v_ashrrev_i32_e32 v68, 31, v67
	;; [unrolled: 1-line block ×4, first 2 shown]
	.loc	1 35 44                         ; indirect_matmul.py:35:44
	s_waitcnt vmcnt(23)
	v_mul_lo_u32 v81, v187, s13
	.loc	1 35 29                         ; indirect_matmul.py:35:29
	v_lshlrev_b64 v[65:66], 1, v[65:66]
	v_lshlrev_b64 v[67:68], 1, v[67:68]
	v_ashrrev_i32_e32 v74, 31, v73
	v_lshlrev_b64 v[69:70], 1, v[69:70]
	.loc	1 35 44                         ; indirect_matmul.py:35:44
	s_waitcnt vmcnt(22)
	v_mul_lo_u32 v83, v188, s13
	.loc	1 35 29                         ; indirect_matmul.py:35:29
	v_ashrrev_i32_e32 v76, 31, v75
	v_lshlrev_b64 v[71:72], 1, v[71:72]
	v_add_co_u32 v137, vcc_lo, v133, v65
	.loc	1 35 44                         ; indirect_matmul.py:35:44
	s_waitcnt vmcnt(21)
	v_mul_lo_u32 v85, v189, s13
	.loc	1 35 29                         ; indirect_matmul.py:35:29
	v_ashrrev_i32_e32 v78, 31, v77
	v_lshlrev_b64 v[73:74], 1, v[73:74]
	v_add_co_ci_u32_e64 v138, null, v134, v66, vcc_lo
	v_add_co_u32 v139, vcc_lo, v133, v67
	.loc	1 35 44                         ; indirect_matmul.py:35:44
	s_waitcnt vmcnt(20)
	v_mul_lo_u32 v87, v190, s13
	.loc	1 35 29                         ; indirect_matmul.py:35:29
	v_ashrrev_i32_e32 v80, 31, v79
	v_lshlrev_b64 v[75:76], 1, v[75:76]
	v_add_co_ci_u32_e64 v140, null, v134, v68, vcc_lo
	v_add_co_u32 v141, vcc_lo, v133, v69
	.loc	1 35 44                         ; indirect_matmul.py:35:44
	s_waitcnt vmcnt(19)
	v_mul_lo_u32 v89, v191, s13
	.loc	1 35 29                         ; indirect_matmul.py:35:29
	v_ashrrev_i32_e32 v82, 31, v81
	v_lshlrev_b64 v[77:78], 1, v[77:78]
	v_add_co_ci_u32_e64 v142, null, v134, v70, vcc_lo
	v_add_co_u32 v143, vcc_lo, v133, v71
	.loc	1 35 44                         ; indirect_matmul.py:35:44
	s_waitcnt vmcnt(18)
	v_mul_lo_u32 v91, v192, s13
	.loc	1 35 29                         ; indirect_matmul.py:35:29
	v_ashrrev_i32_e32 v84, 31, v83
	v_lshlrev_b64 v[79:80], 1, v[79:80]
	v_add_co_ci_u32_e64 v144, null, v134, v72, vcc_lo
	v_add_co_u32 v145, vcc_lo, v133, v73
	.loc	1 35 44                         ; indirect_matmul.py:35:44
	s_waitcnt vmcnt(17)
	v_mul_lo_u32 v93, v193, s13
	.loc	1 35 29                         ; indirect_matmul.py:35:29
	v_ashrrev_i32_e32 v86, 31, v85
	v_lshlrev_b64 v[81:82], 1, v[81:82]
	v_add_co_ci_u32_e64 v146, null, v134, v74, vcc_lo
	v_add_co_u32 v147, vcc_lo, v133, v75
	.loc	1 35 44                         ; indirect_matmul.py:35:44
	s_waitcnt vmcnt(16)
	v_mul_lo_u32 v95, v194, s13
	.loc	1 35 29                         ; indirect_matmul.py:35:29
	v_ashrrev_i32_e32 v88, 31, v87
	v_lshlrev_b64 v[83:84], 1, v[83:84]
	v_add_co_ci_u32_e64 v148, null, v134, v76, vcc_lo
	v_add_co_u32 v149, vcc_lo, v133, v77
	.loc	1 35 44                         ; indirect_matmul.py:35:44
	s_waitcnt vmcnt(15)
	v_mul_lo_u32 v97, v195, s13
	.loc	1 35 29                         ; indirect_matmul.py:35:29
	v_ashrrev_i32_e32 v90, 31, v89
	v_lshlrev_b64 v[85:86], 1, v[85:86]
	v_add_co_ci_u32_e64 v150, null, v134, v78, vcc_lo
	v_add_co_u32 v212, vcc_lo, v133, v79
	.loc	1 35 44                         ; indirect_matmul.py:35:44
	s_waitcnt vmcnt(14)
	v_mul_lo_u32 v99, v196, s13
	.loc	1 35 29                         ; indirect_matmul.py:35:29
	v_ashrrev_i32_e32 v92, 31, v91
	v_lshlrev_b64 v[87:88], 1, v[87:88]
	v_add_co_ci_u32_e64 v213, null, v134, v80, vcc_lo
	v_add_co_u32 v220, vcc_lo, v133, v81
	.loc	1 35 44                         ; indirect_matmul.py:35:44
	s_waitcnt vmcnt(13)
	v_mul_lo_u32 v101, v197, s13
	.loc	1 35 29                         ; indirect_matmul.py:35:29
	v_ashrrev_i32_e32 v94, 31, v93
	v_lshlrev_b64 v[89:90], 1, v[89:90]
	v_add_co_ci_u32_e64 v221, null, v134, v82, vcc_lo
	v_add_co_u32 v222, vcc_lo, v133, v83
	.loc	1 35 44                         ; indirect_matmul.py:35:44
	s_waitcnt vmcnt(12)
	v_mul_lo_u32 v103, v198, s13
	.loc	1 35 29                         ; indirect_matmul.py:35:29
	v_ashrrev_i32_e32 v96, 31, v95
	v_lshlrev_b64 v[91:92], 1, v[91:92]
	v_add_co_ci_u32_e64 v223, null, v134, v84, vcc_lo
	v_add_co_u32 v224, vcc_lo, v133, v85
	.loc	1 35 44                         ; indirect_matmul.py:35:44
	s_waitcnt vmcnt(11)
	v_mul_lo_u32 v105, v199, s13
	.loc	1 35 29                         ; indirect_matmul.py:35:29
	v_ashrrev_i32_e32 v98, 31, v97
	v_lshlrev_b64 v[93:94], 1, v[93:94]
	v_add_co_ci_u32_e64 v225, null, v134, v86, vcc_lo
	v_add_co_u32 v226, vcc_lo, v133, v87
	v_ashrrev_i32_e32 v100, 31, v99
	v_lshlrev_b64 v[95:96], 1, v[95:96]
	v_add_co_ci_u32_e64 v227, null, v134, v88, vcc_lo
	v_add_co_u32 v65, vcc_lo, v133, v89
	v_ashrrev_i32_e32 v102, 31, v101
	v_lshlrev_b64 v[97:98], 1, v[97:98]
	v_add_co_ci_u32_e64 v66, null, v134, v90, vcc_lo
	v_add_co_u32 v67, vcc_lo, v133, v91
	v_ashrrev_i32_e32 v104, 31, v103
	v_lshlrev_b64 v[99:100], 1, v[99:100]
	v_add_co_ci_u32_e64 v68, null, v134, v92, vcc_lo
	v_add_co_u32 v69, vcc_lo, v133, v93
	v_ashrrev_i32_e32 v106, 31, v105
	v_lshlrev_b64 v[101:102], 1, v[101:102]
	v_add_co_ci_u32_e64 v70, null, v134, v94, vcc_lo
	v_add_co_u32 v71, vcc_lo, v133, v95
	v_lshlrev_b64 v[103:104], 1, v[103:104]
	v_add_co_ci_u32_e64 v72, null, v134, v96, vcc_lo
	v_add_co_u32 v73, vcc_lo, v133, v97
	v_lshlrev_b64 v[105:106], 1, v[105:106]
	v_add_co_ci_u32_e64 v74, null, v134, v98, vcc_lo
	v_add_co_u32 v75, vcc_lo, v133, v99
	s_delay_alu instid0(VALU_DEP_1) | instskip(SKIP_1) | instid1(VALU_DEP_1)
	v_add_co_ci_u32_e64 v76, null, v134, v100, vcc_lo
	v_add_co_u32 v77, vcc_lo, v133, v101
	v_add_co_ci_u32_e64 v78, null, v134, v102, vcc_lo
	v_add_co_u32 v79, vcc_lo, v133, v103
	s_delay_alu instid0(VALU_DEP_1)
	v_add_co_ci_u32_e64 v80, null, v134, v104, vcc_lo
	v_add_co_u32 v81, vcc_lo, v133, v105
	.loc	1 35 20                         ; indirect_matmul.py:35:20
	s_clause 0x3
	global_load_u16 v214, v[137:138], off
	global_load_u16 v215, v[139:140], off
	;; [unrolled: 1-line block ×4, first 2 shown]
	.loc	1 35 44                         ; indirect_matmul.py:35:44
	s_waitcnt vmcnt(14)
	v_mul_lo_u32 v107, v200, s13
	s_waitcnt vmcnt(13)
	v_mul_lo_u32 v109, v201, s13
	;; [unrolled: 2-line block ×8, first 2 shown]
	.loc	1 35 29                         ; indirect_matmul.py:35:29
	v_ashrrev_i32_e32 v108, 31, v107
	v_ashrrev_i32_e32 v110, 31, v109
	;; [unrolled: 1-line block ×4, first 2 shown]
	.loc	1 35 44                         ; indirect_matmul.py:35:44
	s_waitcnt vmcnt(6)
	v_mul_lo_u32 v123, v208, s13
	.loc	1 35 29                         ; indirect_matmul.py:35:29
	v_lshlrev_b64 v[107:108], 1, v[107:108]
	v_lshlrev_b64 v[109:110], 1, v[109:110]
	v_ashrrev_i32_e32 v116, 31, v115
	v_lshlrev_b64 v[111:112], 1, v[111:112]
	.loc	1 35 44                         ; indirect_matmul.py:35:44
	s_waitcnt vmcnt(5)
	v_mul_lo_u32 v125, v209, s13
	.loc	1 35 29                         ; indirect_matmul.py:35:29
	v_ashrrev_i32_e32 v118, 31, v117
	v_lshlrev_b64 v[113:114], 1, v[113:114]
	v_add_co_ci_u32_e64 v82, null, v134, v106, vcc_lo
	v_add_co_u32 v83, vcc_lo, v133, v107
	.loc	1 35 44                         ; indirect_matmul.py:35:44
	s_waitcnt vmcnt(4)
	v_mul_lo_u32 v135, v210, s13
	.loc	1 35 29                         ; indirect_matmul.py:35:29
	v_ashrrev_i32_e32 v120, 31, v119
	v_lshlrev_b64 v[115:116], 1, v[115:116]
	v_add_co_ci_u32_e64 v84, null, v134, v108, vcc_lo
	v_add_co_u32 v85, vcc_lo, v133, v109
	v_ashrrev_i32_e32 v122, 31, v121
	v_lshlrev_b64 v[117:118], 1, v[117:118]
	v_add_co_ci_u32_e64 v86, null, v134, v110, vcc_lo
	v_add_co_u32 v87, vcc_lo, v133, v111
	;; [unrolled: 4-line block ×5, first 2 shown]
	v_lshlrev_b64 v[125:126], 1, v[125:126]
	v_add_co_ci_u32_e64 v94, null, v134, v118, vcc_lo
	v_add_co_u32 v95, vcc_lo, v133, v119
	v_lshlrev_b64 v[135:136], 1, v[135:136]
	v_add_co_ci_u32_e64 v96, null, v134, v120, vcc_lo
	v_add_co_u32 v97, vcc_lo, v133, v121
	s_delay_alu instid0(VALU_DEP_1) | instskip(SKIP_1) | instid1(VALU_DEP_1)
	v_add_co_ci_u32_e64 v98, null, v134, v122, vcc_lo
	v_add_co_u32 v99, vcc_lo, v133, v123
	v_add_co_ci_u32_e64 v100, null, v134, v124, vcc_lo
	v_add_co_u32 v101, vcc_lo, v133, v125
	s_delay_alu instid0(VALU_DEP_1) | instskip(SKIP_1) | instid1(VALU_DEP_1)
	v_add_co_ci_u32_e64 v102, null, v134, v126, vcc_lo
	v_add_co_u32 v103, vcc_lo, v133, v135
	v_add_co_ci_u32_e64 v104, null, v134, v136, vcc_lo
	v_dual_mov_b32 v143, v251 :: v_dual_mov_b32 v144, v0
	.loc	1 36 44 is_stmt 1               ; indirect_matmul.py:36:44
	v_mul_lo_u32 v107, v200, s4
	v_mul_lo_u32 v109, v201, s4
	;; [unrolled: 1-line block ×8, first 2 shown]
	.loc	1 36 29 is_stmt 0               ; indirect_matmul.py:36:29
	v_ashrrev_i32_e32 v108, 31, v107
	v_ashrrev_i32_e32 v110, 31, v109
	;; [unrolled: 1-line block ×4, first 2 shown]
	.loc	1 36 44                         ; indirect_matmul.py:36:44
	v_mul_lo_u32 v123, v208, s4
	.loc	1 36 29                         ; indirect_matmul.py:36:29
	v_lshlrev_b64 v[107:108], 1, v[107:108]
	v_lshlrev_b64 v[109:110], 1, v[109:110]
	v_ashrrev_i32_e32 v116, 31, v115
	v_lshlrev_b64 v[111:112], 1, v[111:112]
	.loc	1 36 44                         ; indirect_matmul.py:36:44
	v_mul_lo_u32 v125, v209, s4
	.loc	1 36 29                         ; indirect_matmul.py:36:29
	v_ashrrev_i32_e32 v118, 31, v117
	v_lshlrev_b64 v[113:114], 1, v[113:114]
	v_ashrrev_i32_e32 v120, 31, v119
	v_lshlrev_b64 v[115:116], 1, v[115:116]
	;; [unrolled: 2-line block ×5, first 2 shown]
	v_dual_mov_b32 v137, v174 :: v_dual_mov_b32 v138, v173
	v_lshlrev_b64 v[123:124], 1, v[123:124]
	s_delay_alu instid0(VALU_DEP_4)
	v_lshlrev_b64 v[125:126], 1, v[125:126]
	v_dual_mov_b32 v139, v176 :: v_dual_mov_b32 v140, v175
	v_dual_mov_b32 v141, v178 :: v_dual_mov_b32 v142, v177
	v_dual_mov_b32 v174, v154 :: v_dual_mov_b32 v173, v153
	v_mov_b32_e32 v178, v131
	v_dual_mov_b32 v176, v158 :: v_dual_mov_b32 v175, v157
	v_mov_b32_e32 v177, v132
	.loc	1 35 20 is_stmt 1               ; indirect_matmul.py:35:20
	s_waitcnt vmcnt(0)
	scratch_store_b32 off, v105, off offset:64 ; 4-byte Folded Spill
	s_clause 0x1b
	global_load_u16 v217, v[145:146], off
	global_load_u16 v218, v[147:148], off
	;; [unrolled: 1-line block ×28, first 2 shown]
	s_clause 0x1                            ; 8-byte Folded Reload
	scratch_load_b32 v135, off, off offset:32
	scratch_load_b32 v136, off, off
	.loc	1 36 44                         ; indirect_matmul.py:36:44
	v_mul_lo_u32 v65, v127, s4
	v_mul_lo_u32 v67, v128, s4
	;; [unrolled: 1-line block ×8, first 2 shown]
	.loc	1 36 29 is_stmt 0               ; indirect_matmul.py:36:29
	v_ashrrev_i32_e32 v66, 31, v65
	v_ashrrev_i32_e32 v68, 31, v67
	v_ashrrev_i32_e32 v70, 31, v69
	v_ashrrev_i32_e32 v72, 31, v71
	.loc	1 36 44                         ; indirect_matmul.py:36:44
	v_mul_lo_u32 v81, v187, s4
	.loc	1 36 29                         ; indirect_matmul.py:36:29
	v_lshlrev_b64 v[65:66], 1, v[65:66]
	v_lshlrev_b64 v[67:68], 1, v[67:68]
	v_ashrrev_i32_e32 v74, 31, v73
	v_lshlrev_b64 v[69:70], 1, v[69:70]
	.loc	1 36 44                         ; indirect_matmul.py:36:44
	v_mul_lo_u32 v83, v188, s4
	.loc	1 36 29                         ; indirect_matmul.py:36:29
	v_ashrrev_i32_e32 v76, 31, v75
	v_add_co_u32 v65, vcc_lo, v155, v65
	s_delay_alu instid0(VALU_DEP_1) | instskip(SKIP_1) | instid1(VALU_DEP_1)
	v_add_co_ci_u32_e64 v66, null, v156, v66, vcc_lo
	v_add_co_u32 v67, vcc_lo, v155, v67
	v_add_co_ci_u32_e64 v68, null, v156, v68, vcc_lo
	v_lshlrev_b64 v[71:72], 1, v[71:72]
	.loc	1 36 44                         ; indirect_matmul.py:36:44
	v_mul_lo_u32 v85, v189, s4
	.loc	1 36 29                         ; indirect_matmul.py:36:29
	v_ashrrev_i32_e32 v78, 31, v77
	v_lshlrev_b64 v[73:74], 1, v[73:74]
	.loc	1 36 44                         ; indirect_matmul.py:36:44
	v_mul_lo_u32 v87, v190, s4
	.loc	1 36 29                         ; indirect_matmul.py:36:29
	v_ashrrev_i32_e32 v80, 31, v79
	v_lshlrev_b64 v[75:76], 1, v[75:76]
	v_add_co_u32 v69, vcc_lo, v155, v69
	.loc	1 36 44                         ; indirect_matmul.py:36:44
	v_mul_lo_u32 v89, v191, s4
	.loc	1 36 29                         ; indirect_matmul.py:36:29
	v_ashrrev_i32_e32 v82, 31, v81
	v_lshlrev_b64 v[77:78], 1, v[77:78]
	v_add_co_ci_u32_e64 v70, null, v156, v70, vcc_lo
	v_add_co_u32 v71, vcc_lo, v155, v71
	.loc	1 36 44                         ; indirect_matmul.py:36:44
	v_mul_lo_u32 v91, v192, s4
	.loc	1 36 29                         ; indirect_matmul.py:36:29
	v_ashrrev_i32_e32 v84, 31, v83
	v_lshlrev_b64 v[79:80], 1, v[79:80]
	v_add_co_ci_u32_e64 v72, null, v156, v72, vcc_lo
	;; [unrolled: 7-line block ×9, first 2 shown]
	v_add_co_u32 v87, vcc_lo, v155, v87
	v_ashrrev_i32_e32 v100, 31, v99
	v_lshlrev_b64 v[95:96], 1, v[95:96]
	v_add_co_ci_u32_e64 v88, null, v156, v88, vcc_lo
	v_add_co_u32 v89, vcc_lo, v155, v89
	v_ashrrev_i32_e32 v102, 31, v101
	v_lshlrev_b64 v[97:98], 1, v[97:98]
	v_add_co_ci_u32_e64 v90, null, v156, v90, vcc_lo
	;; [unrolled: 4-line block ×4, first 2 shown]
	v_add_co_u32 v95, vcc_lo, v155, v95
	v_lshlrev_b64 v[103:104], 1, v[103:104]
	v_add_co_ci_u32_e64 v96, null, v156, v96, vcc_lo
	v_add_co_u32 v97, vcc_lo, v155, v97
	v_lshlrev_b64 v[105:106], 1, v[105:106]
	v_add_co_ci_u32_e64 v98, null, v156, v98, vcc_lo
	v_add_co_u32 v99, vcc_lo, v155, v99
	s_delay_alu instid0(VALU_DEP_1) | instskip(SKIP_1) | instid1(VALU_DEP_1)
	v_add_co_ci_u32_e64 v100, null, v156, v100, vcc_lo
	v_add_co_u32 v101, vcc_lo, v155, v101
	v_add_co_ci_u32_e64 v102, null, v156, v102, vcc_lo
	v_add_co_u32 v103, vcc_lo, v155, v103
	s_delay_alu instid0(VALU_DEP_1) | instskip(SKIP_1) | instid1(VALU_DEP_1)
	v_add_co_ci_u32_e64 v104, null, v156, v104, vcc_lo
	v_add_co_u32 v105, vcc_lo, v155, v105
	v_add_co_ci_u32_e64 v106, null, v156, v106, vcc_lo
	v_add_co_u32 v107, vcc_lo, v155, v107
	.loc	1 36 44                         ; indirect_matmul.py:36:44
	v_mul_lo_u32 v127, v210, s4
	.loc	1 36 29                         ; indirect_matmul.py:36:29
	v_add_co_ci_u32_e64 v108, null, v156, v108, vcc_lo
	v_add_co_u32 v109, vcc_lo, v155, v109
	s_delay_alu instid0(VALU_DEP_1) | instskip(SKIP_1) | instid1(VALU_DEP_1)
	v_add_co_ci_u32_e64 v110, null, v156, v110, vcc_lo
	v_add_co_u32 v111, vcc_lo, v155, v111
	v_add_co_ci_u32_e64 v112, null, v156, v112, vcc_lo
	v_add_co_u32 v113, vcc_lo, v155, v113
	s_delay_alu instid0(VALU_DEP_1) | instskip(SKIP_4) | instid1(VALU_DEP_1)
	v_add_co_ci_u32_e64 v114, null, v156, v114, vcc_lo
	v_add_co_u32 v115, vcc_lo, v155, v115
	v_ashrrev_i32_e32 v128, 31, v127
	v_add_co_ci_u32_e64 v116, null, v156, v116, vcc_lo
	v_add_co_u32 v117, vcc_lo, v155, v117
	v_add_co_ci_u32_e64 v118, null, v156, v118, vcc_lo
	v_add_co_u32 v119, vcc_lo, v155, v119
	v_lshlrev_b64 v[127:128], 1, v[127:128]
	v_add_co_ci_u32_e64 v120, null, v156, v120, vcc_lo
	v_add_co_u32 v121, vcc_lo, v155, v121
	s_delay_alu instid0(VALU_DEP_1) | instskip(SKIP_1) | instid1(VALU_DEP_1)
	v_add_co_ci_u32_e64 v122, null, v156, v122, vcc_lo
	v_add_co_u32 v123, vcc_lo, v155, v123
	v_add_co_ci_u32_e64 v124, null, v156, v124, vcc_lo
	v_add_co_u32 v125, vcc_lo, v155, v125
	s_delay_alu instid0(VALU_DEP_1) | instskip(SKIP_1) | instid1(VALU_DEP_1)
	v_add_co_ci_u32_e64 v126, null, v156, v126, vcc_lo
	v_add_co_u32 v127, vcc_lo, v155, v127
	v_add_co_ci_u32_e64 v128, null, v156, v128, vcc_lo
	v_dual_mov_b32 v145, v164 :: v_dual_mov_b32 v146, v163
	v_dual_mov_b32 v147, v166 :: v_dual_mov_b32 v148, v165
	;; [unrolled: 1-line block ×3, first 2 shown]
	.loc	1 32 25 is_stmt 1               ; indirect_matmul.py:32:25
	v_add_co_u32 v129, vcc_lo, 0x100, v129
	s_delay_alu instid0(VALU_DEP_1)
	v_add_co_ci_u32_e64 v130, null, 0, v130, vcc_lo
	.loc	1 35 20                         ; indirect_matmul.py:35:20
	s_waitcnt vmcnt(0) lgkmcnt(0)
	s_waitcnt_vscnt null, 0x0
	s_barrier
	buffer_gl0_inv
	.loc	1 36 20                         ; indirect_matmul.py:36:20
	global_load_u16 v0, v[65:66], off
	s_waitcnt vmcnt(0)
	scratch_store_b32 off, v0, off offset:32 ; 4-byte Folded Spill
	global_load_u16 v0, v[67:68], off
	s_waitcnt vmcnt(0)
	scratch_store_b32 off, v0, off          ; 4-byte Folded Spill
	s_clause 0x1d
	global_load_u16 v184, v[69:70], off
	global_load_u16 v183, v[71:72], off
	;; [unrolled: 1-line block ×30, first 2 shown]
	.loc	1 35 20                         ; indirect_matmul.py:35:20
	ds_load_u16 v123, v179 offset:1024
	ds_load_u16 v124, v179 offset:1536
	;; [unrolled: 1-line block ×58, first 2 shown]
	ds_load_u16 v121, v179
	s_waitcnt lgkmcnt(52)
	ds_load_u16_d16_hi v125, v179 offset:2304
	s_waitcnt lgkmcnt(52)
	ds_load_u16_d16_hi v126, v179 offset:2816
	;; [unrolled: 2-line block ×3, first 2 shown]
	ds_load_u16 v122, v179 offset:512
	ds_load_u16 v113, v179 offset:128
	s_waitcnt lgkmcnt(44)
	ds_load_u16_d16_hi v90, v179 offset:9088
	ds_load_u16 v72, v179 offset:7808
	s_waitcnt lgkmcnt(22)
	ds_load_u16_d16_hi v110, v179 offset:15232
	ds_load_u16 v108, v179 offset:13952
	ds_load_u16 v107, v179 offset:13440
	ds_load_u16_d16_hi v123, v179 offset:1280
	ds_load_u16_d16_hi v124, v179 offset:1792
	;; [unrolled: 1-line block ×18, first 2 shown]
	s_waitcnt lgkmcnt(42)
	ds_load_u16_d16_hi v77, v179 offset:10496
	ds_load_u16_d16_hi v76, v179 offset:9984
	s_waitcnt lgkmcnt(40)
	ds_load_u16_d16_hi v92, v179 offset:10112
	ds_load_u16_d16_hi v91, v179 offset:9600
	s_waitcnt lgkmcnt(37)
	ds_load_u16_d16_hi v101, v179 offset:14592
	ds_load_u16_d16_hi v103, v179 offset:15616
	s_waitcnt lgkmcnt(38)
	ds_load_u16_d16_hi v102, v179 offset:15104
	ds_load_u16_d16_hi v78, v179 offset:11008
	ds_load_u16_d16_hi v79, v179 offset:11520
	ds_load_u16_d16_hi v80, v179 offset:12032
	;; [unrolled: 1-line block ×6, first 2 shown]
	s_waitcnt lgkmcnt(43)
	ds_load_u16_d16_hi v112, v179 offset:16256
	ds_load_u16_d16_hi v111, v179 offset:15744
	s_waitcnt lgkmcnt(44)
	ds_load_u16_d16_hi v121, v179 offset:256
	s_waitcnt lgkmcnt(41)
	;; [unrolled: 2-line block ×3, first 2 shown]
	ds_load_u16_d16_hi v113, v179 offset:384
	ds_load_u16_d16_hi v115, v179 offset:1408
	;; [unrolled: 1-line block ×3, first 2 shown]
	s_waitcnt lgkmcnt(42)
	ds_load_u16_d16_hi v72, v179 offset:8064
	ds_load_u16_d16_hi v85, v179 offset:6400
	;; [unrolled: 1-line block ×7, first 2 shown]
	s_waitcnt lgkmcnt(47)
	ds_load_u16_d16_hi v108, v179 offset:14208
	ds_load_u16_d16_hi v97, v179 offset:12544
	;; [unrolled: 1-line block ×11, first 2 shown]
	s_waitcnt lgkmcnt(57)
	ds_load_u16_d16_hi v107, v179 offset:13696
	ds_load_u16_d16_hi v106, v179 offset:13184
	.loc	1 38 21                         ; indirect_matmul.py:38:21
	ds_store_b16 v160, v135 offset:16384
	ds_store_b16 v160, v136 offset:16896
	;; [unrolled: 1-line block ×21, first 2 shown]
	s_clause 0x5                            ; 24-byte Folded Reload
	scratch_load_b32 v135, off, off offset:84
	scratch_load_b32 v136, off, off offset:88
	;; [unrolled: 1-line block ×6, first 2 shown]
	ds_store_b16 v160, v178 offset:31744
	s_waitcnt vmcnt(35)
	v_mov_b32_e32 v174, v184
	ds_store_b16 v160, v175 offset:31232
	s_waitcnt vmcnt(31)
	v_dual_mov_b32 v175, v185 :: v_dual_mov_b32 v178, v188
	s_waitcnt vmcnt(5)
	ds_store_b16 v135, v138 offset:16384
	s_waitcnt vmcnt(4)
	ds_store_b16 v136, v142 offset:16384
	scratch_load_b32 v138, off, off offset:96 ; 4-byte Folded Reload
	s_waitcnt vmcnt(4)
	ds_store_b16 v137, v146 offset:16384
	ds_store_b16 v160, v176 offset:30720
	s_waitcnt vmcnt(3)
	ds_store_b16 v0, v246 offset:16384
	v_mov_b32_e32 v176, v186
	s_waitcnt vmcnt(2)
	ds_store_b16 v167, v250 offset:16384
	s_waitcnt vmcnt(1)
	ds_store_b16 v168, v173 offset:16384
	ds_store_b16 v162, v177 offset:16384
	v_mov_b32_e32 v173, v183
	v_mov_b32_e32 v177, v187
	s_waitcnt vmcnt(0)
	ds_store_b16 v138, v150 offset:16384
	s_waitcnt lgkmcnt(0)
	s_waitcnt_vscnt null, 0x0
	s_barrier
	buffer_gl0_inv
	.loc	1 35 20                         ; indirect_matmul.py:35:20
	scratch_load_b32 v139, off, off offset:64 ; 4-byte Folded Reload
	.loc	1 38 21                         ; indirect_matmul.py:38:21
	ds_load_u16 v181, v180 offset:16384
	ds_load_u16 v182, v180 offset:16896
	;; [unrolled: 1-line block ×24, first 2 shown]
	.loc	1 35 20                         ; indirect_matmul.py:35:20
	ds_store_b16 v160, v214
	ds_store_b16 v160, v215 offset:512
	ds_store_b16 v160, v216 offset:1024
	;; [unrolled: 1-line block ×7, first 2 shown]
	s_waitcnt vmcnt(0)
	ds_store_b16 v135, v139
	ds_store_b16 v136, v213
	ds_store_b16 v137, v220
	ds_store_b16 v138, v242
	ds_store_b16 v160, v212 offset:5120
	.loc	1 38 21                         ; indirect_matmul.py:38:21
	ds_load_u16 v244, v180 offset:21120
	ds_load_u16 v213, v180 offset:20672
	ds_load_u16 v136, v180 offset:20992
	ds_load_u16 v137, v180 offset:21504
	ds_load_u16 v245, v180 offset:21632
	ds_load_u16 v214, v180 offset:21184
	ds_load_u16 v138, v180 offset:22016
	ds_load_u16 v246, v180 offset:22144
	ds_load_u16 v215, v180 offset:21696
	ds_load_u16 v139, v180 offset:22528
	ds_load_u16 v247, v180 offset:22656
	ds_load_u16 v216, v180 offset:22208
	ds_load_u16 v140, v180 offset:23040
	ds_load_u16 v248, v180 offset:23168
	ds_load_u16 v217, v180 offset:22720
	ds_load_u16 v141, v180 offset:23552
	ds_load_u16 v249, v180 offset:23680
	ds_load_u16 v218, v180 offset:23232
	ds_load_u16 v142, v180 offset:24064
	ds_load_u16 v250, v180 offset:24192
	ds_load_u16 v219, v180 offset:23744
	ds_load_u16 v197, v180 offset:16448
	ds_load_u16 v189, v180 offset:16512
	ds_load_u16 v190, v180 offset:17024
	s_waitcnt lgkmcnt(39)
	ds_load_u16_d16_hi v206, v180 offset:17344
	ds_load_u16 v205, v180 offset:16576
	ds_load_u16_d16_hi v181, v180 offset:16640
	ds_load_u16_d16_hi v192, v180 offset:18304
	;; [unrolled: 1-line block ×13, first 2 shown]
	ds_load_u16 v208, v180 offset:18112
	ds_load_u16 v209, v180 offset:18624
	;; [unrolled: 1-line block ×4, first 2 shown]
	ds_load_u16_d16_hi v196, v180 offset:20352
	ds_load_u16 v135, v180 offset:20480
	ds_load_u16 v212, v180 offset:20160
	s_waitcnt lgkmcnt(24)
	ds_load_u16_d16_hi v197, v180 offset:16704
	s_waitcnt lgkmcnt(24)
	ds_load_u16_d16_hi v189, v180 offset:16768
	;; [unrolled: 2-line block ×3, first 2 shown]
	ds_load_u16_d16_hi v198, v180 offset:17216
	ds_load_u16_d16_hi v190, v180 offset:17280
	.loc	1 38 26 is_stmt 0               ; indirect_matmul.py:38:26
	s_waitcnt lgkmcnt(12)
	v_wmma_f32_16x16x16_f16 v[25:32], v[121:128], v[181:188], v[25:32]
	v_wmma_f32_16x16x16_f16 v[57:64], v[113:120], v[181:188], v[57:64]
	.loc	1 38 21                         ; indirect_matmul.py:38:21
	ds_load_u16 v188, v180 offset:24128
	ds_load_u16_d16_hi v199, v180 offset:17728
	ds_load_u16_d16_hi v207, v180 offset:17856
	;; [unrolled: 1-line block ×3, first 2 shown]
	s_waitcnt lgkmcnt(15)
	ds_load_u16_d16_hi v208, v180 offset:18368
	ds_load_u16_d16_hi v201, v180 offset:18752
	s_waitcnt lgkmcnt(16)
	ds_load_u16_d16_hi v209, v180 offset:18880
	ds_load_u16_d16_hi v202, v180 offset:19264
	;; [unrolled: 3-line block ×5, first 2 shown]
	ds_load_u16_d16_hi v243, v180 offset:20864
	ds_load_u16 v181, v180 offset:20544
	.loc	1 38 26                         ; indirect_matmul.py:38:26
	s_waitcnt lgkmcnt(16)
	v_wmma_f32_16x16x16_f16 v[33:40], v[121:128], v[189:196], v[33:40]
	v_wmma_f32_16x16x16_f16 v[17:24], v[113:120], v[189:196], v[17:24]
	.loc	1 38 21                         ; indirect_matmul.py:38:21
	ds_load_u16 v189, v180 offset:24768
	.loc	1 38 26                         ; indirect_matmul.py:38:26
	s_waitcnt lgkmcnt(5)
	v_wmma_f32_16x16x16_f16 v[49:56], v[121:128], v[197:204], v[49:56]
	s_waitcnt lgkmcnt(4)
	v_wmma_f32_16x16x16_f16 v[9:16], v[121:128], v[205:212], v[9:16]
	v_wmma_f32_16x16x16_f16 v[1:8], v[113:120], v[205:212], v[1:8]
	.loc	1 38 21                         ; indirect_matmul.py:38:21
	ds_load_u16 v205, v180 offset:28800
	ds_load_u16 v196, v180 offset:28352
	;; [unrolled: 1-line block ×5, first 2 shown]
	.loc	1 38 26                         ; indirect_matmul.py:38:26
	v_wmma_f32_16x16x16_f16 v[41:48], v[113:120], v[197:204], v[41:48]
	.loc	1 38 21                         ; indirect_matmul.py:38:21
	ds_load_u16 v121, v180 offset:25088
	ds_load_u16 v122, v180 offset:25600
	;; [unrolled: 1-line block ×19, first 2 shown]
	.loc	1 35 20 is_stmt 1               ; indirect_matmul.py:35:20
	ds_store_b16 v160, v234 offset:6144
	ds_store_b16 v160, v235 offset:6656
	;; [unrolled: 1-line block ×8, first 2 shown]
	.loc	1 38 21                         ; indirect_matmul.py:38:21
	ds_load_u16 v145, v180 offset:29696
	ds_load_u16 v207, v180 offset:29824
	ds_load_u16 v234, v180 offset:29376
	ds_load_u16 v146, v180 offset:30208
	ds_load_u16 v208, v180 offset:30336
	ds_load_u16 v235, v180 offset:29888
	ds_load_u16 v147, v180 offset:30720
	ds_load_u16 v209, v180 offset:30848
	ds_load_u16 v236, v180 offset:30400
	ds_load_u16 v148, v180 offset:31232
	ds_load_u16 v210, v180 offset:31360
	ds_load_u16 v237, v180 offset:30912
	ds_load_u16 v149, v180 offset:31744
	ds_load_u16 v211, v180 offset:31872
	ds_load_u16 v238, v180 offset:31424
	ds_load_u16 v150, v180 offset:32256
	ds_load_u16 v212, v180 offset:32384
	ds_load_u16 v239, v180 offset:31936
	ds_load_u16 v240, v180 offset:32448
	.loc	1 35 20                         ; indirect_matmul.py:35:20
	ds_store_b16 v160, v227 offset:11264
	ds_store_b16 v160, v228 offset:12288
	ds_store_b16 v160, v229 offset:12800
	ds_store_b16 v160, v230 offset:13312
	ds_store_b16 v160, v231 offset:14336
	ds_store_b16 v160, v232 offset:14848
	ds_store_b16 v160, v233 offset:15360
	.loc	1 38 21                         ; indirect_matmul.py:38:21
	ds_load_u16 v233, v180 offset:28864
	s_waitcnt lgkmcnt(58)
	ds_load_u16_d16_hi v205, v180 offset:29056
	s_waitcnt lgkmcnt(56)
	ds_load_u16_d16_hi v206, v180 offset:29568
	;; [unrolled: 2-line block ×3, first 2 shown]
	ds_load_u16_d16_hi v136, v180 offset:21248
	ds_load_u16_d16_hi v244, v180 offset:21376
	;; [unrolled: 1-line block ×14, first 2 shown]
	ds_load_u16 v120, v180 offset:24576
	ds_load_u16 v220, v180 offset:24256
	;; [unrolled: 1-line block ×4, first 2 shown]
	.loc	1 38 26 is_stmt 0               ; indirect_matmul.py:38:26
	s_waitcnt lgkmcnt(5)
	v_wmma_f32_16x16x16_f16 v[25:32], v[81:88], v[135:142], v[25:32]
	v_wmma_f32_16x16x16_f16 v[57:64], v[65:72], v[135:142], v[57:64]
	.loc	1 38 21                         ; indirect_matmul.py:38:21
	ds_load_u16 v136, v180 offset:29248
	ds_load_u16_d16_hi v145, v180 offset:29952
	ds_load_u16_d16_hi v207, v180 offset:30080
	ds_load_u16 v137, v180 offset:29760
	ds_load_u16_d16_hi v146, v180 offset:30464
	ds_load_u16_d16_hi v208, v180 offset:30592
	ds_load_u16 v138, v180 offset:30272
	ds_load_u16_d16_hi v147, v180 offset:30976
	ds_load_u16_d16_hi v209, v180 offset:31104
	ds_load_u16 v139, v180 offset:30784
	ds_load_u16_d16_hi v148, v180 offset:31488
	ds_load_u16_d16_hi v210, v180 offset:31616
	ds_load_u16 v140, v180 offset:31296
	ds_load_u16_d16_hi v149, v180 offset:32000
	ds_load_u16_d16_hi v211, v180 offset:32128
	ds_load_u16 v141, v180 offset:31808
	ds_load_u16_d16_hi v150, v180 offset:32512
	ds_load_u16_d16_hi v212, v180 offset:32640
	ds_load_u16 v142, v180 offset:32320
	ds_load_u16 v182, v180 offset:21056
	;; [unrolled: 1-line block ×7, first 2 shown]
	ds_load_u16_d16_hi v181, v180 offset:20800
	ds_load_u16_d16_hi v213, v180 offset:20928
	.loc	1 38 26                         ; indirect_matmul.py:38:26
	s_waitcnt lgkmcnt(31)
	v_wmma_f32_16x16x16_f16 v[33:40], v[81:88], v[243:250], v[33:40]
	v_wmma_f32_16x16x16_f16 v[17:24], v[65:72], v[243:250], v[17:24]
	.loc	1 38 21                         ; indirect_matmul.py:38:21
	ds_load_u16 v241, v180 offset:24640
	ds_load_u16_d16_hi v121, v180 offset:25344
	s_waitcnt lgkmcnt(29)
	ds_load_u16_d16_hi v198, v180 offset:25472
	ds_load_u16 v242, v180 offset:25152
	ds_load_u16_d16_hi v122, v180 offset:25856
	ds_load_u16_d16_hi v199, v180 offset:25984
	ds_load_u16 v243, v180 offset:25664
	ds_load_u16_d16_hi v123, v180 offset:26368
	;; [unrolled: 3-line block ×7, first 2 shown]
	ds_load_u16 v135, v180 offset:28736
	s_waitcnt lgkmcnt(26)
	ds_load_u16_d16_hi v187, v180 offset:23872
	ds_load_u16_d16_hi v219, v180 offset:24000
	;; [unrolled: 1-line block ×16, first 2 shown]
	s_waitcnt lgkmcnt(39)
	ds_load_u16_d16_hi v241, v180 offset:24896
	ds_load_u16_d16_hi v189, v180 offset:25024
	s_waitcnt lgkmcnt(38)
	ds_load_u16_d16_hi v242, v180 offset:25408
	ds_load_u16_d16_hi v190, v180 offset:25536
	s_waitcnt lgkmcnt(37)
	ds_load_u16_d16_hi v243, v180 offset:25920
	ds_load_u16_d16_hi v191, v180 offset:26048
	s_waitcnt lgkmcnt(36)
	ds_load_u16_d16_hi v244, v180 offset:26432
	ds_load_u16_d16_hi v192, v180 offset:26560
	s_waitcnt lgkmcnt(35)
	ds_load_u16_d16_hi v245, v180 offset:26944
	ds_load_u16_d16_hi v193, v180 offset:27072
	s_waitcnt lgkmcnt(34)
	ds_load_u16_d16_hi v246, v180 offset:27456
	ds_load_u16_d16_hi v194, v180 offset:27584
	s_waitcnt lgkmcnt(33)
	ds_load_u16_d16_hi v247, v180 offset:27968
	ds_load_u16_d16_hi v195, v180 offset:28096
	s_waitcnt lgkmcnt(32)
	ds_load_u16_d16_hi v248, v180 offset:28480
	ds_load_u16_d16_hi v196, v180 offset:28608
	s_waitcnt lgkmcnt(32)
	ds_load_u16_d16_hi v135, v180 offset:28992
	ds_load_u16_d16_hi v233, v180 offset:29120
	ds_load_u16_d16_hi v136, v180 offset:29504
	ds_load_u16_d16_hi v234, v180 offset:29632
	;; [unrolled: 1-line block ×14, first 2 shown]
	v_mov_b32_e32 v250, v161
	.loc	1 35 20 is_stmt 1               ; indirect_matmul.py:35:20
	ds_store_b16 v0, v223
	.loc	1 38 26                         ; indirect_matmul.py:38:26
	s_waitcnt lgkmcnt(36)
	v_wmma_f32_16x16x16_f16 v[49:56], v[81:88], v[181:188], v[49:56]
	v_wmma_f32_16x16x16_f16 v[41:48], v[65:72], v[181:188], v[41:48]
	s_waitcnt lgkmcnt(35)
	v_wmma_f32_16x16x16_f16 v[9:16], v[81:88], v[213:220], v[9:16]
	v_wmma_f32_16x16x16_f16 v[1:8], v[65:72], v[213:220], v[1:8]
	;; [unrolled: 3-line block ×6, first 2 shown]
	v_wmma_f32_16x16x16_f16 v[25:32], v[97:104], v[143:150], v[25:32]
	v_wmma_f32_16x16x16_f16 v[57:64], v[105:112], v[143:150], v[57:64]
	;; [unrolled: 1-line block ×3, first 2 shown]
	v_mov_b32_e32 v247, v159
	v_dual_mov_b32 v248, v151 :: v_dual_mov_b32 v151, v164
	v_mov_b32_e32 v246, v171
	v_wmma_f32_16x16x16_f16 v[17:24], v[105:112], v[205:212], v[17:24]
	s_waitcnt lgkmcnt(2)
	v_wmma_f32_16x16x16_f16 v[49:56], v[97:104], v[135:142], v[49:56]
	v_wmma_f32_16x16x16_f16 v[41:48], v[105:112], v[135:142], v[41:48]
	s_waitcnt lgkmcnt(1)
	v_wmma_f32_16x16x16_f16 v[9:16], v[97:104], v[233:240], v[9:16]
	v_wmma_f32_16x16x16_f16 v[1:8], v[105:112], v[233:240], v[1:8]
	v_mov_b32_e32 v0, v172
	v_mov_b32_e32 v164, v221
	.loc	1 35 20                         ; indirect_matmul.py:35:20
	ds_store_b16 v167, v224
	ds_store_b16 v168, v225
	ds_store_b16 v162, v226
	.loc	1 32 25                         ; indirect_matmul.py:32:25
	s_cbranch_scc1 .LBB0_130
; %bb.131:                              ; %Flow
	.loc	1 0 25 is_stmt 0                ; indirect_matmul.py:0:25
	s_clause 0xa                            ; 44-byte Folded Reload
	scratch_load_b32 v116, off, off offset:104
	scratch_load_b32 v115, off, off offset:100
	;; [unrolled: 1-line block ×11, first 2 shown]
	s_branch .LBB0_133
.LBB0_132:
	v_mov_b32_e32 v8, 0
	s_delay_alu instid0(VALU_DEP_1)
	v_mov_b32_e32 v7, v8
	v_mov_b32_e32 v6, v8
	v_mov_b32_e32 v5, v8
	v_mov_b32_e32 v4, v8
	v_mov_b32_e32 v3, v8
	v_mov_b32_e32 v2, v8
	v_mov_b32_e32 v1, v8
	v_mov_b32_e32 v16, v8
	v_mov_b32_e32 v15, v8
	v_mov_b32_e32 v14, v8
	v_mov_b32_e32 v13, v8
	v_mov_b32_e32 v12, v8
	v_mov_b32_e32 v11, v8
	v_mov_b32_e32 v10, v8
	v_mov_b32_e32 v9, v8
	v_mov_b32_e32 v24, v8
	v_mov_b32_e32 v23, v8
	v_mov_b32_e32 v22, v8
	v_mov_b32_e32 v21, v8
	v_mov_b32_e32 v20, v8
	v_mov_b32_e32 v19, v8
	v_mov_b32_e32 v18, v8
	v_mov_b32_e32 v17, v8
	v_mov_b32_e32 v40, v8
	v_mov_b32_e32 v39, v8
	v_mov_b32_e32 v38, v8
	v_mov_b32_e32 v37, v8
	v_mov_b32_e32 v36, v8
	v_mov_b32_e32 v35, v8
	v_mov_b32_e32 v34, v8
	v_mov_b32_e32 v33, v8
	v_mov_b32_e32 v48, v8
	v_mov_b32_e32 v47, v8
	v_mov_b32_e32 v46, v8
	v_mov_b32_e32 v45, v8
	v_mov_b32_e32 v44, v8
	v_mov_b32_e32 v43, v8
	v_mov_b32_e32 v42, v8
	v_mov_b32_e32 v41, v8
	v_mov_b32_e32 v56, v8
	v_mov_b32_e32 v55, v8
	v_mov_b32_e32 v54, v8
	v_mov_b32_e32 v53, v8
	v_mov_b32_e32 v52, v8
	v_mov_b32_e32 v51, v8
	v_mov_b32_e32 v50, v8
	v_mov_b32_e32 v49, v8
	v_mov_b32_e32 v64, v8
	v_mov_b32_e32 v63, v8
	v_mov_b32_e32 v62, v8
	v_mov_b32_e32 v61, v8
	v_mov_b32_e32 v60, v8
	v_mov_b32_e32 v59, v8
	v_mov_b32_e32 v58, v8
	v_mov_b32_e32 v57, v8
	v_mov_b32_e32 v32, v8
	v_mov_b32_e32 v31, v8
	v_mov_b32_e32 v30, v8
	v_mov_b32_e32 v29, v8
	v_mov_b32_e32 v28, v8
	v_mov_b32_e32 v27, v8
	v_mov_b32_e32 v26, v8
	v_mov_b32_e32 v25, v8
.LBB0_133:                              ; %Flow597
	.loc	1 35 20 is_stmt 1               ; indirect_matmul.py:35:20
	s_waitcnt vmcnt(10)
	v_and_b32_e32 v113, 15, v116
	s_waitcnt vmcnt(0) lgkmcnt(0)
	s_waitcnt_vscnt null, 0x0
	s_barrier
	buffer_gl0_inv
	s_load_b32 s0, s[0:1], 0x8
	v_lshlrev_b32_e32 v238, 1, v113
	.loc	1 32 25                         ; indirect_matmul.py:32:25
	s_add_i32 s12, s12, 63
	s_delay_alu instid0(SALU_CYCLE_1) | instskip(NEXT) | instid1(VALU_DEP_1)
	s_cmp_lt_i32 s12, 64
	.loc	1 35 20                         ; indirect_matmul.py:35:20
	v_add3_u32 v114, 0, v238, v115
	ds_load_u16 v69, v114
	ds_load_u16 v70, v114 offset:256
	ds_load_u16 v71, v114 offset:512
	;; [unrolled: 1-line block ×127, first 2 shown]
	.loc	1 38 21                         ; indirect_matmul.py:38:21
	scratch_load_b32 v114, off, off offset:32 ; 4-byte Folded Reload
	s_waitcnt vmcnt(0)
	ds_store_b16 v160, v114 offset:16384
	scratch_load_b32 v114, off, off         ; 4-byte Folded Reload
	s_waitcnt vmcnt(0)
	ds_store_b16 v160, v114 offset:16896
	ds_store_b16 v160, v174 offset:17408
	;; [unrolled: 1-line block ×31, first 2 shown]
	s_waitcnt lgkmcnt(0)
	s_barrier
	buffer_gl0_inv
	s_cbranch_scc1 .LBB0_135
; %bb.134:
	.loc	1 38 26 is_stmt 0               ; indirect_matmul.py:38:26
	v_perm_b32 v80, v99, v80, 0x5040100
	v_perm_b32 v79, v98, v79, 0x5040100
	;; [unrolled: 1-line block ×8, first 2 shown]
	scratch_store_b32 off, v135, off offset:64 ; 4-byte Folded Spill
	.loc	1 38 21                         ; indirect_matmul.py:38:21
	v_add3_u32 v135, 0, v123, v238
	v_dual_mov_b32 v124, v80 :: v_dual_mov_b32 v123, v79
	v_dual_mov_b32 v122, v78 :: v_dual_mov_b32 v121, v77
	;; [unrolled: 1-line block ×4, first 2 shown]
	.loc	1 38 26                         ; indirect_matmul.py:38:26
	s_clause 0x1                            ; 32-byte Folded Spill
	scratch_store_b128 off, v[117:120], off offset:32
	scratch_store_b128 off, v[121:124], off offset:48
	v_perm_b32 v196, v83, v67, 0x5040100
	v_perm_b32 v78, v88, v87, 0x5040100
	v_dual_mov_b32 v67, v143 :: v_dual_mov_b32 v160, v182
	.loc	1 38 21                         ; indirect_matmul.py:38:21
	ds_load_u16 v143, v135 offset:32256
	ds_load_u16 v88, v135 offset:32384
	;; [unrolled: 1-line block ×3, first 2 shown]
	.loc	1 38 26                         ; indirect_matmul.py:38:26
	v_perm_b32 v201, v112, v111, 0x5040100
	v_perm_b32 v200, v110, v109, 0x5040100
	;; [unrolled: 1-line block ×8, first 2 shown]
	v_dual_mov_b32 v65, v140 :: v_dual_mov_b32 v182, v146
	.loc	1 38 21                         ; indirect_matmul.py:38:21
	ds_load_u16 v140, v135 offset:30720
	ds_load_u16 v85, v135 offset:30848
	;; [unrolled: 1-line block ×4, first 2 shown]
	.loc	1 38 26                         ; indirect_matmul.py:38:26
	s_clause 0x1                            ; 32-byte Folded Spill
	scratch_store_b128 off, v[194:197], off
	scratch_store_b128 off, v[198:201], off offset:16
	.loc	1 38 21                         ; indirect_matmul.py:38:21
	ds_load_u16 v99, v135 offset:17600
	ds_load_u16 v98, v135 offset:17088
	v_dual_mov_b32 v76, v181 :: v_dual_mov_b32 v71, v155
	v_dual_mov_b32 v70, v150 :: v_dual_mov_b32 v155, v139
	;; [unrolled: 1-line block ×3, first 2 shown]
	ds_load_u16 v167, v135 offset:29760
	ds_load_u16 v150, v135 offset:19456
	;; [unrolled: 1-line block ×4, first 2 shown]
	s_waitcnt lgkmcnt(10)
	ds_load_u16_d16_hi v87, v135 offset:32128
	ds_load_u16_d16_hi v143, v135 offset:32512
	;; [unrolled: 1-line block ×3, first 2 shown]
	v_dual_mov_b32 v68, v145 :: v_dual_mov_b32 v181, v144
	ds_load_u16 v144, v135 offset:16384
	ds_load_u16 v151, v135 offset:19968
	v_dual_mov_b32 v75, v172 :: v_dual_mov_b32 v162, v183
	ds_load_u16 v172, v135 offset:32320
	s_waitcnt lgkmcnt(14)
	ds_load_u16_d16_hi v85, v135 offset:31104
	ds_load_u16 v149, v135 offset:18944
	ds_load_u16 v110, v135 offset:19072
	v_dual_mov_b32 v69, v147 :: v_dual_mov_b32 v66, v133
	ds_load_u16 v147, v135 offset:17920
	ds_load_u16 v108, v135 offset:18048
	v_dual_mov_b32 v183, v148 :: v_dual_mov_b32 v74, v171
	;; [unrolled: 3-line block ×3, first 2 shown]
	ds_load_u16 v142, v135 offset:31744
	ds_load_u16 v242, v135 offset:31424
	s_waitcnt lgkmcnt(22)
	ds_load_u16_d16_hi v141, v135 offset:31488
	s_waitcnt lgkmcnt(22)
	ds_load_u16_d16_hi v86, v135 offset:31616
	ds_load_u16 v170, v135 offset:31296
	ds_load_u16 v111, v135 offset:19584
	;; [unrolled: 1-line block ×9, first 2 shown]
	s_waitcnt lgkmcnt(30)
	ds_load_u16_d16_hi v98, v135 offset:17344
	ds_load_u16 v145, v135 offset:16896
	ds_load_u16 v105, v135 offset:16512
	;; [unrolled: 1-line block ×5, first 2 shown]
	s_waitcnt lgkmcnt(32)
	ds_load_u16_d16_hi v84, v135 offset:30592
	ds_load_u16 v241, v135 offset:30912
	ds_load_u16_d16_hi v140, v135 offset:30976
	ds_load_u16 v169, v135 offset:30784
	.loc	1 38 26                         ; indirect_matmul.py:38:26
	v_perm_b32 v91, v229, v91, 0x5040100
	.loc	1 38 21                         ; indirect_matmul.py:38:21
	ds_load_u16 v229, v135 offset:20992
	ds_load_u16 v137, v135 offset:29184
	;; [unrolled: 1-line block ×3, first 2 shown]
	s_waitcnt lgkmcnt(14)
	ds_load_u16_d16_hi v107, v135 offset:17792
	ds_load_u16_d16_hi v147, v135 offset:18176
	;; [unrolled: 1-line block ×8, first 2 shown]
	ds_load_u16 v112, v135 offset:20096
	ds_load_u16_d16_hi v111, v135 offset:19840
	ds_load_u16_d16_hi v151, v135 offset:20224
	;; [unrolled: 1-line block ×3, first 2 shown]
	ds_load_u16 v244, v135 offset:32448
	s_waitcnt lgkmcnt(21)
	ds_load_u16_d16_hi v171, v135 offset:32064
	s_waitcnt lgkmcnt(21)
	ds_load_u16_d16_hi v243, v135 offset:32192
	ds_load_u16_d16_hi v172, v135 offset:32576
	s_waitcnt lgkmcnt(21)
	ds_load_u16_d16_hi v241, v135 offset:31168
	ds_load_u16_d16_hi v142, v135 offset:32000
	;; [unrolled: 1-line block ×3, first 2 shown]
	ds_load_u16 v81, v135 offset:28800
	ds_load_u16_d16_hi v146, v135 offset:17664
	ds_load_u16_d16_hi v145, v135 offset:17152
	ds_load_u16_d16_hi v144, v135 offset:16640
	ds_load_u16_d16_hi v83, v135 offset:30080
	ds_load_u16 v240, v135 offset:30400
	ds_load_u16_d16_hi v139, v135 offset:30464
	.loc	1 38 26                         ; indirect_matmul.py:38:26
	v_perm_b32 v79, v95, v94, 0x5040100
	v_mov_b32_e32 v73, v168
	v_perm_b32 v252, v104, v214, 0x5040100
	v_perm_b32 v251, v213, v215, 0x5040100
	;; [unrolled: 1-line block ×3, first 2 shown]
	v_mov_b32_e32 v96, v79
	v_perm_b32 v249, v101, v103, 0x5040100
	v_perm_b32 v248, v74, v76, 0x5040100
	;; [unrolled: 1-line block ×6, first 2 shown]
	v_dual_mov_b32 v95, v78 :: v_dual_mov_b32 v94, v77
	v_perm_b32 v93, v231, v93, 0x5040100
	v_perm_b32 v92, v230, v92, 0x5040100
	;; [unrolled: 1-line block ×3, first 2 shown]
	s_waitcnt lgkmcnt(3)
	v_wmma_f32_16x16x16_f16 v[57:64], v[245:252], v[144:151], v[57:64]
	v_dual_mov_b32 v132, v126 :: v_dual_mov_b32 v131, v115
	v_mov_b32_e32 v0, v116
	v_perm_b32 v153, v235, v234, 0x5040100
	v_perm_b32 v152, v233, v232, 0x5040100
	v_dual_mov_b32 v253, v136 :: v_dual_mov_b32 v72, v159
	.loc	1 38 21                         ; indirect_matmul.py:38:21
	ds_load_u16 v136, v135 offset:28672
	ds_load_u16_d16_hi v81, v135 offset:29056
	ds_load_u16 v238, v135 offset:29376
	ds_load_u16_d16_hi v137, v135 offset:29440
	ds_load_u16 v166, v135 offset:29248
	ds_load_u16 v228, v135 offset:20480
	;; [unrolled: 1-line block ×3, first 2 shown]
	ds_load_u16_d16_hi v112, v135 offset:20352
	ds_load_u16 v104, v135 offset:20160
	ds_load_u16 v103, v135 offset:19648
	;; [unrolled: 1-line block ×5, first 2 shown]
	ds_load_u16_d16_hi v97, v135 offset:16832
	.loc	1 38 26                         ; indirect_matmul.py:38:26
	v_perm_b32 v126, v210, v212, 0x5040100
	v_perm_b32 v125, v187, v189, 0x5040100
	.loc	1 38 21                         ; indirect_matmul.py:38:21
	ds_load_u16 v168, v135 offset:30272
	ds_load_u16_d16_hi v82, v135 offset:29568
	ds_load_u16 v239, v135 offset:29888
	ds_load_u16_d16_hi v138, v135 offset:29952
	.loc	1 38 26                         ; indirect_matmul.py:38:26
	v_perm_b32 v154, v237, v236, 0x5040100
	.loc	1 38 21                         ; indirect_matmul.py:38:21
	ds_load_u16 v159, v135 offset:17472
	ds_load_u16_d16_hi v158, v135 offset:17216
	ds_load_u16_d16_hi v106, v135 offset:17280
	;; [unrolled: 1-line block ×5, first 2 shown]
	v_dual_mov_b32 v73, v89 :: v_dual_mov_b32 v74, v90
	v_mov_b32_e32 v77, v93
	v_dual_mov_b32 v75, v91 :: v_dual_mov_b32 v76, v92
	v_dual_mov_b32 v79, v95 :: v_dual_mov_b32 v78, v94
	v_mov_b32_e32 v80, v96
	.loc	1 38 26                         ; indirect_matmul.py:38:26
	s_clause 0x1                            ; 32-byte Folded Reload
	scratch_load_b128 v[89:92], off, off offset:32
	scratch_load_b128 v[93:96], off, off offset:48
	s_waitcnt lgkmcnt(1)
	v_wmma_f32_16x16x16_f16 v[17:24], v[245:252], v[105:112], v[17:24]
	v_wmma_f32_16x16x16_f16 v[25:32], v[117:124], v[144:151], v[25:32]
	v_mov_b32_e32 v144, v127
	.loc	1 38 21                         ; indirect_matmul.py:38:21
	ds_load_u16 v115, v135 offset:21120
	ds_load_u16 v230, v135 offset:21504
	;; [unrolled: 1-line block ×12, first 2 shown]
	.loc	1 38 26                         ; indirect_matmul.py:38:26
	v_perm_b32 v127, v208, v211, 0x5040100
	v_perm_b32 v124, v188, v202, 0x5040100
	;; [unrolled: 1-line block ×3, first 2 shown]
	v_dual_mov_b32 v146, v129 :: v_dual_mov_b32 v145, v128
	v_perm_b32 v129, v219, v222, 0x5040100
	.loc	1 38 21                         ; indirect_matmul.py:38:21
	ds_load_u16 v190, v135 offset:27648
	ds_load_u16 v214, v135 offset:27776
	;; [unrolled: 1-line block ×3, first 2 shown]
	ds_load_u16_d16_hi v228, v135 offset:20736
	ds_load_u16_d16_hi v114, v135 offset:20864
	;; [unrolled: 1-line block ×3, first 2 shown]
	s_waitcnt lgkmcnt(17)
	ds_load_u16_d16_hi v115, v135 offset:21376
	s_waitcnt lgkmcnt(17)
	ds_load_u16_d16_hi v230, v135 offset:21760
	;; [unrolled: 2-line block ×12, first 2 shown]
	ds_load_u16 v189, v135 offset:27136
	ds_load_u16 v213, v135 offset:27264
	;; [unrolled: 1-line block ×8, first 2 shown]
	.loc	1 38 26                         ; indirect_matmul.py:38:26
	v_perm_b32 v128, v221, v223, 0x5040100
	v_perm_b32 v122, v179, v161, 0x5040100
	;; [unrolled: 1-line block ×4, first 2 shown]
	.loc	1 38 21                         ; indirect_matmul.py:38:21
	s_waitcnt lgkmcnt(24)
	ds_load_u16_d16_hi v214, v135 offset:28032
	ds_load_u16 v184, v135 offset:24576
	ds_load_u16 v208, v135 offset:24704
	s_waitcnt lgkmcnt(26)
	ds_load_u16_d16_hi v121, v135 offset:24448
	ds_load_u16 v180, v135 offset:24256
	ds_load_u16 v179, v135 offset:23744
	;; [unrolled: 1-line block ×8, first 2 shown]
	.loc	1 38 26                         ; indirect_matmul.py:38:26
	v_perm_b32 v151, v227, v226, 0x5040100
	v_perm_b32 v149, v217, v216, 0x5040100
	;; [unrolled: 1-line block ×3, first 2 shown]
	s_waitcnt lgkmcnt(20)
	v_wmma_f32_16x16x16_f16 v[25:32], v[194:201], v[228:235], v[25:32]
	v_wmma_f32_16x16x16_f16 v[57:64], v[122:129], v[228:235], v[57:64]
	v_perm_b32 v199, v185, v160, 0x5040100
	v_perm_b32 v198, v186, v162, 0x5040100
	.loc	1 38 21                         ; indirect_matmul.py:38:21
	ds_load_u16 v223, v135 offset:28352
	s_waitcnt lgkmcnt(14)
	ds_load_u16_d16_hi v191, v135 offset:28416
	s_waitcnt lgkmcnt(14)
	ds_load_u16_d16_hi v215, v135 offset:28544
	ds_load_u16 v231, v135 offset:28224
	ds_load_u16_d16_hi v240, v135 offset:30656
	ds_load_u16 v186, v135 offset:25600
	ds_load_u16 v210, v135 offset:25728
	ds_load_u16_d16_hi v169, v135 offset:31040
	ds_load_u16_d16_hi v239, v135 offset:30144
	ds_load_u16 v222, v135 offset:27840
	ds_load_u16_d16_hi v213, v135 offset:27520
	ds_load_u16_d16_hi v190, v135 offset:27904
	ds_load_u16 v230, v135 offset:27712
	ds_load_u16_d16_hi v212, v135 offset:27008
	ds_load_u16 v185, v135 offset:25088
	ds_load_u16 v209, v135 offset:25216
	;; [unrolled: 1-line block ×3, first 2 shown]
	ds_load_u16_d16_hi v189, v135 offset:27392
	ds_load_u16 v229, v135 offset:27200
	ds_load_u16 v220, v135 offset:26816
	;; [unrolled: 1-line block ×3, first 2 shown]
	ds_load_u16_d16_hi v211, v135 offset:26496
	ds_load_u16_d16_hi v188, v135 offset:26880
	ds_load_u16 v228, v135 offset:26688
	ds_load_u16 v218, v135 offset:25792
	ds_load_u16_d16_hi v168, v135 offset:30528
	.loc	1 38 26                         ; indirect_matmul.py:38:26
	v_perm_b32 v197, v69, v71, 0x5040100
	v_perm_b32 v196, v70, v72, 0x5040100
	;; [unrolled: 1-line block ×5, first 2 shown]
	.loc	1 38 21                         ; indirect_matmul.py:38:21
	s_waitcnt lgkmcnt(19)
	ds_load_u16_d16_hi v210, v135 offset:25984
	ds_load_u16_d16_hi v187, v135 offset:26368
	ds_load_u16 v227, v135 offset:26176
	s_waitcnt lgkmcnt(19)
	ds_load_u16_d16_hi v222, v135 offset:28096
	ds_load_u16 v237, v135 offset:28864
	ds_load_u16_d16_hi v223, v135 offset:28608
	ds_load_u16_d16_hi v136, v135 offset:28928
	ds_load_u16 v165, v135 offset:28736
	ds_load_u16_d16_hi v231, v135 offset:28480
	s_waitcnt lgkmcnt(19)
	ds_load_u16_d16_hi v209, v135 offset:25472
	ds_load_u16_d16_hi v186, v135 offset:25856
	ds_load_u16 v226, v135 offset:25664
	s_waitcnt lgkmcnt(21)
	ds_load_u16_d16_hi v221, v135 offset:27584
	ds_load_u16_d16_hi v230, v135 offset:27968
	s_waitcnt lgkmcnt(20)
	ds_load_u16_d16_hi v220, v135 offset:27072
	ds_load_u16_d16_hi v229, v135 offset:27456
	s_waitcnt lgkmcnt(21)
	ds_load_u16_d16_hi v219, v135 offset:26560
	s_waitcnt lgkmcnt(19)
	ds_load_u16_d16_hi v228, v135 offset:26944
	s_waitcnt lgkmcnt(19)
	ds_load_u16_d16_hi v218, v135 offset:26048
	ds_load_u16 v72, v135 offset:24128
	s_waitcnt lgkmcnt(17)
	ds_load_u16_d16_hi v227, v135 offset:26432
	ds_load_u16 v71, v135 offset:23616
	ds_load_u16 v70, v135 offset:23104
	ds_load_u16_d16_hi v208, v135 offset:24960
	ds_load_u16 v217, v135 offset:25280
	ds_load_u16_d16_hi v185, v135 offset:25344
	ds_load_u16 v225, v135 offset:25152
	ds_load_u16 v69, v135 offset:22592
	;; [unrolled: 1-line block ×4, first 2 shown]
	ds_load_u16_d16_hi v179, v135 offset:24000
	ds_load_u16 v164, v135 offset:20032
	ds_load_u16 v163, v135 offset:19520
	;; [unrolled: 1-line block ×5, first 2 shown]
	ds_load_u16_d16_hi v180, v135 offset:24512
	ds_load_u16_d16_hi v184, v135 offset:24832
	ds_load_u16 v224, v135 offset:24640
	.loc	1 38 26                         ; indirect_matmul.py:38:26
	v_perm_b32 v200, v204, v206, 0x5040100
	v_wmma_f32_16x16x16_f16 v[17:24], v[122:129], v[114:121], v[17:24]
	.loc	1 38 21                         ; indirect_matmul.py:38:21
	s_waitcnt lgkmcnt(19)
	ds_load_u16_d16_hi v72, v135 offset:24384
	ds_load_u16 v160, v135 offset:17984
	ds_load_u16_d16_hi v178, v135 offset:23488
	s_waitcnt lgkmcnt(20)
	ds_load_u16_d16_hi v71, v135 offset:23872
	ds_load_u16_d16_hi v177, v135 offset:22976
	s_waitcnt lgkmcnt(21)
	ds_load_u16_d16_hi v70, v135 offset:23360
	ds_load_u16 v66, v135 offset:21056
	ds_load_u16 v65, v135 offset:20544
	ds_load_u16_d16_hi v176, v135 offset:22464
	s_waitcnt lgkmcnt(20)
	ds_load_u16_d16_hi v69, v135 offset:22848
	ds_load_u16_d16_hi v175, v135 offset:21952
	s_waitcnt lgkmcnt(21)
	ds_load_u16_d16_hi v68, v135 offset:22336
	;; [unrolled: 3-line block ×7, first 2 shown]
	ds_load_u16_d16_hi v159, v135 offset:17728
	ds_load_u16_d16_hi v174, v135 offset:21440
	;; [unrolled: 1-line block ×4, first 2 shown]
	s_waitcnt lgkmcnt(19)
	ds_load_u16_d16_hi v66, v135 offset:21312
	s_waitcnt lgkmcnt(19)
	ds_load_u16_d16_hi v65, v135 offset:20800
	ds_load_u16_d16_hi v217, v135 offset:25536
	;; [unrolled: 1-line block ×12, first 2 shown]
	.loc	1 38 26                         ; indirect_matmul.py:38:26
	v_wmma_f32_16x16x16_f16 v[25:32], v[73:80], v[184:191], v[25:32]
	v_wmma_f32_16x16x16_f16 v[57:64], v[194:201], v[184:191], v[57:64]
	v_perm_b32 v186, v130, v133, 0x5040100
	scratch_load_b32 v130, off, off offset:64 ; 4-byte Folded Reload
	v_perm_b32 v188, v182, v192, 0x5040100
	v_perm_b32 v187, v183, v156, 0x5040100
	;; [unrolled: 1-line block ×6, first 2 shown]
	v_wmma_f32_16x16x16_f16 v[17:24], v[194:201], v[208:215], v[17:24]
	s_waitcnt lgkmcnt(16)
	v_wmma_f32_16x16x16_f16 v[41:48], v[245:252], v[157:164], v[41:48]
	v_wmma_f32_16x16x16_f16 v[25:32], v[147:154], v[136:143], v[25:32]
	s_waitcnt lgkmcnt(11)
	s_delay_alu instid0(VALU_DEP_2)
	v_wmma_f32_16x16x16_f16 v[41:48], v[122:129], v[65:72], v[41:48]
	s_waitcnt lgkmcnt(0)
	v_wmma_f32_16x16x16_f16 v[1:8], v[245:252], v[97:104], v[1:8]
	s_waitcnt vmcnt(1)
	v_wmma_f32_16x16x16_f16 v[49:56], v[89:96], v[157:164], v[49:56]
	s_clause 0x1                            ; 32-byte Folded Reload
	scratch_load_b128 v[89:92], off, off
	scratch_load_b128 v[93:96], off, off offset:16
	v_wmma_f32_16x16x16_f16 v[41:48], v[194:201], v[224:231], v[41:48]
	v_wmma_f32_16x16x16_f16 v[1:8], v[122:129], v[173:180], v[1:8]
	s_delay_alu instid0(VALU_DEP_1) | instskip(SKIP_2) | instid1(VALU_DEP_1)
	v_wmma_f32_16x16x16_f16 v[1:8], v[194:201], v[216:223], v[1:8]
	s_waitcnt vmcnt(2)
	v_perm_b32 v183, v130, v134, 0x5040100
	v_wmma_f32_16x16x16_f16 v[57:64], v[181:188], v[136:143], v[57:64]
	v_wmma_f32_16x16x16_f16 v[41:48], v[181:188], v[165:172], v[41:48]
	;; [unrolled: 1-line block ×4, first 2 shown]
	s_waitcnt vmcnt(0)
	v_wmma_f32_16x16x16_f16 v[49:56], v[89:96], v[65:72], v[49:56]
	v_dual_mov_b32 v96, v80 :: v_dual_mov_b32 v95, v79
	s_clause 0x1                            ; 32-byte Folded Reload
	scratch_load_b128 v[65:68], off, off
	scratch_load_b128 v[69:72], off, off offset:16
	v_dual_mov_b32 v94, v78 :: v_dual_mov_b32 v93, v77
	v_dual_mov_b32 v92, v76 :: v_dual_mov_b32 v91, v75
	;; [unrolled: 1-line block ×3, first 2 shown]
	v_wmma_f32_16x16x16_f16 v[49:56], v[73:80], v[224:231], v[49:56]
	s_clause 0x1                            ; 32-byte Folded Reload
	scratch_load_b128 v[73:76], off, off offset:32
	scratch_load_b128 v[77:80], off, off offset:48
	v_wmma_f32_16x16x16_f16 v[49:56], v[147:154], v[165:172], v[49:56]
	s_waitcnt vmcnt(0)
	v_wmma_f32_16x16x16_f16 v[33:40], v[73:80], v[105:112], v[33:40]
	v_wmma_f32_16x16x16_f16 v[9:16], v[73:80], v[97:104], v[9:16]
	s_delay_alu instid0(VALU_DEP_2) | instskip(NEXT) | instid1(VALU_DEP_2)
	v_wmma_f32_16x16x16_f16 v[33:40], v[65:72], v[114:121], v[33:40]
	v_wmma_f32_16x16x16_f16 v[9:16], v[65:72], v[173:180], v[9:16]
	v_dual_mov_b32 v65, v89 :: v_dual_mov_b32 v116, v0
	v_dual_mov_b32 v67, v91 :: v_dual_mov_b32 v66, v90
	;; [unrolled: 1-line block ×5, first 2 shown]
	s_delay_alu instid0(VALU_DEP_1) | instskip(SKIP_1) | instid1(VALU_DEP_2)
	v_wmma_f32_16x16x16_f16 v[33:40], v[65:72], v[208:215], v[33:40]
	v_wmma_f32_16x16x16_f16 v[9:16], v[65:72], v[216:223], v[9:16]
	;; [unrolled: 1-line block ×3, first 2 shown]
	s_delay_alu instid0(VALU_DEP_2)
	v_wmma_f32_16x16x16_f16 v[9:16], v[147:154], v[237:244], v[9:16]
.LBB0_135:                              ; %._crit_edge._crit_edge
	.loc	1 0 26                          ; indirect_matmul.py:0:26
	v_and_b32_e32 v66, 0x80, v116
	.loc	1 26 35 is_stmt 1               ; indirect_matmul.py:26:35
	v_lshrrev_b32_e32 v0, 4, v116
	v_lshrrev_b32_e32 v65, 1, v115
	s_delay_alu instid0(VALU_DEP_1) | instskip(NEXT) | instid1(VALU_DEP_4)
	v_and_or_b32 v0, v0, 1, v65
	.loc	1 42 28                         ; indirect_matmul.py:42:28
	v_lshrrev_b32_e32 v65, 3, v66
	s_delay_alu instid0(VALU_DEP_2) | instskip(NEXT) | instid1(VALU_DEP_2)
	.loc	1 26 35                         ; indirect_matmul.py:26:35
	v_or_b32_e32 v67, 2, v0
	.loc	1 42 28                         ; indirect_matmul.py:42:28
	v_or_b32_e32 v65, v65, v113
	;; [unrolled: 2-line block ×3, first 2 shown]
	v_or_b32_e32 v71, 6, v0
	v_or_b32_e32 v66, 0x44, v0
	.loc	1 42 48                         ; indirect_matmul.py:42:48
	v_mul_lo_u32 v67, v67, s0
	.loc	1 42 21 is_stmt 0               ; indirect_matmul.py:42:21
	v_lshlrev_b32_e32 v65, 2, v65
	.loc	1 26 35 is_stmt 1               ; indirect_matmul.py:26:35
	v_or_b32_e32 v73, 8, v0
	.loc	1 42 48                         ; indirect_matmul.py:42:48
	v_mul_lo_u32 v69, v69, s0
	.loc	1 26 35                         ; indirect_matmul.py:26:35
	v_or_b32_e32 v68, 0x48, v0
	v_or_b32_e32 v75, 10, v0
	.loc	1 42 21                         ; indirect_matmul.py:42:21
	v_add_co_u32 v97, s1, s2, v65
	.loc	1 42 48 is_stmt 0               ; indirect_matmul.py:42:48
	v_mul_lo_u32 v65, v0, s0
	v_mul_lo_u32 v71, v71, s0
	.loc	1 26 35 is_stmt 1               ; indirect_matmul.py:26:35
	v_or_b32_e32 v70, 0x4e, v0
	v_or_b32_e32 v77, 12, v0
	.loc	1 42 48                         ; indirect_matmul.py:42:48
	v_mul_lo_u32 v73, v73, s0
	v_mul_lo_u32 v85, v66, s0
	.loc	1 26 35                         ; indirect_matmul.py:26:35
	v_or_b32_e32 v72, 0x4c, v0
	v_or_b32_e32 v79, 14, v0
	.loc	1 42 39                         ; indirect_matmul.py:42:39
	v_ashrrev_i32_e32 v66, 31, v65
	.loc	1 42 48 is_stmt 0               ; indirect_matmul.py:42:48
	v_mul_lo_u32 v75, v75, s0
	v_mul_lo_u32 v89, v68, s0
	.loc	1 42 39                         ; indirect_matmul.py:42:39
	v_ashrrev_i32_e32 v68, 31, v67
	.loc	1 26 35 is_stmt 1               ; indirect_matmul.py:26:35
	v_or_b32_e32 v74, 0x4a, v0
	v_or_b32_e32 v80, 64, v0
	.loc	1 42 48                         ; indirect_matmul.py:42:48
	v_mul_lo_u32 v77, v77, s0
	v_mul_lo_u32 v95, v70, s0
	.loc	1 42 39 is_stmt 0               ; indirect_matmul.py:42:39
	v_ashrrev_i32_e32 v70, 31, v69
	.loc	1 26 35 is_stmt 1               ; indirect_matmul.py:26:35
	v_or_b32_e32 v76, 0x46, v0
	v_or_b32_e32 v78, 0x42, v0
	.loc	1 42 39                         ; indirect_matmul.py:42:39
	v_lshlrev_b64 v[65:66], 2, v[65:66]
	.loc	1 42 48 is_stmt 0               ; indirect_matmul.py:42:48
	v_mul_lo_u32 v79, v79, s0
	v_mul_lo_u32 v93, v72, s0
	.loc	1 42 39                         ; indirect_matmul.py:42:39
	v_ashrrev_i32_e32 v72, 31, v71
	v_lshlrev_b64 v[67:68], 2, v[67:68]
	.loc	1 42 21                         ; indirect_matmul.py:42:21
	v_add_co_ci_u32_e64 v98, null, s3, 0, s1
	.loc	1 42 48                         ; indirect_matmul.py:42:48
	v_mul_lo_u32 v81, v80, s0
	v_mul_lo_u32 v91, v74, s0
	.loc	1 42 39                         ; indirect_matmul.py:42:39
	v_ashrrev_i32_e32 v74, 31, v73
	v_lshlrev_b64 v[69:70], 2, v[69:70]
	.loc	1 42 48                         ; indirect_matmul.py:42:48
	v_mul_lo_u32 v83, v78, s0
	v_mul_lo_u32 v87, v76, s0
	.loc	1 42 39                         ; indirect_matmul.py:42:39
	v_ashrrev_i32_e32 v76, 31, v75
	v_add_co_u32 v65, vcc_lo, v97, v65
	v_lshlrev_b64 v[71:72], 2, v[71:72]
	v_ashrrev_i32_e32 v78, 31, v77
	v_add_co_ci_u32_e64 v66, null, v98, v66, vcc_lo
	v_add_co_u32 v67, vcc_lo, v97, v67
	v_lshlrev_b64 v[73:74], 2, v[73:74]
	v_ashrrev_i32_e32 v80, 31, v79
	v_add_co_ci_u32_e64 v68, null, v98, v68, vcc_lo
	;; [unrolled: 4-line block ×10, first 2 shown]
	v_add_co_u32 v85, vcc_lo, v97, v85
	v_lshlrev_b64 v[91:92], 2, v[91:92]
	v_add_co_ci_u32_e64 v86, null, v98, v86, vcc_lo
	v_add_co_u32 v87, vcc_lo, v97, v87
	v_lshlrev_b64 v[93:94], 2, v[93:94]
	v_add_co_ci_u32_e64 v88, null, v98, v88, vcc_lo
	v_add_co_u32 v89, vcc_lo, v97, v89
	v_lshlrev_b64 v[95:96], 2, v[95:96]
	v_add_co_ci_u32_e64 v90, null, v98, v90, vcc_lo
	v_add_co_u32 v91, vcc_lo, v97, v91
	s_delay_alu instid0(VALU_DEP_1) | instskip(SKIP_1) | instid1(VALU_DEP_1)
	v_add_co_ci_u32_e64 v92, null, v98, v92, vcc_lo
	v_add_co_u32 v93, vcc_lo, v97, v93
	v_add_co_ci_u32_e64 v94, null, v98, v94, vcc_lo
	v_add_co_u32 v95, vcc_lo, v97, v95
	s_delay_alu instid0(VALU_DEP_1)
	v_add_co_ci_u32_e64 v96, null, v98, v96, vcc_lo
	.loc	1 43 23 is_stmt 1               ; indirect_matmul.py:43:23
	s_clause 0x1f
	global_store_b32 v[65:66], v25, off
	global_store_b32 v[67:68], v26, off
	;; [unrolled: 1-line block ×16, first 2 shown]
	global_store_b32 v[65:66], v49, off offset:128
	global_store_b32 v[67:68], v50, off offset:128
	;; [unrolled: 1-line block ×16, first 2 shown]
	s_clause 0x1f
	global_store_b32 v[65:66], v33, off offset:256
	global_store_b32 v[67:68], v34, off offset:256
	global_store_b32 v[69:70], v35, off offset:256
	global_store_b32 v[71:72], v36, off offset:256
	global_store_b32 v[73:74], v37, off offset:256
	global_store_b32 v[75:76], v38, off offset:256
	global_store_b32 v[77:78], v39, off offset:256
	global_store_b32 v[79:80], v40, off offset:256
	global_store_b32 v[81:82], v17, off offset:256
	global_store_b32 v[83:84], v18, off offset:256
	global_store_b32 v[85:86], v19, off offset:256
	global_store_b32 v[87:88], v20, off offset:256
	global_store_b32 v[89:90], v21, off offset:256
	global_store_b32 v[91:92], v22, off offset:256
	global_store_b32 v[93:94], v23, off offset:256
	global_store_b32 v[95:96], v24, off offset:256
	global_store_b32 v[65:66], v9, off offset:384
	global_store_b32 v[67:68], v10, off offset:384
	global_store_b32 v[69:70], v11, off offset:384
	global_store_b32 v[71:72], v12, off offset:384
	global_store_b32 v[73:74], v13, off offset:384
	global_store_b32 v[75:76], v14, off offset:384
	global_store_b32 v[77:78], v15, off offset:384
	global_store_b32 v[79:80], v16, off offset:384
	global_store_b32 v[81:82], v1, off offset:384
	global_store_b32 v[83:84], v2, off offset:384
	global_store_b32 v[85:86], v3, off offset:384
	global_store_b32 v[87:88], v4, off offset:384
	global_store_b32 v[89:90], v5, off offset:384
	global_store_b32 v[91:92], v6, off offset:384
	global_store_b32 v[93:94], v7, off offset:384
	global_store_b32 v[95:96], v8, off offset:384
	.loc	1 43 4 is_stmt 0                ; indirect_matmul.py:43:4
	s_endpgm
.Ltmp1:
	.section	.rodata,"a",@progbits
	.p2align	6, 0x0
	.amdhsa_kernel indirect_matmul_kernel
		.amdhsa_group_segment_fixed_size 0
		.amdhsa_private_segment_fixed_size 116
		.amdhsa_kernarg_size 80
		.amdhsa_user_sgpr_count 15
		.amdhsa_user_sgpr_dispatch_ptr 0
		.amdhsa_user_sgpr_queue_ptr 0
		.amdhsa_user_sgpr_kernarg_segment_ptr 1
		.amdhsa_user_sgpr_dispatch_id 0
		.amdhsa_user_sgpr_private_segment_size 0
		.amdhsa_wavefront_size32 1
		.amdhsa_uses_dynamic_stack 0
		.amdhsa_enable_private_segment 1
		.amdhsa_system_sgpr_workgroup_id_x 1
		.amdhsa_system_sgpr_workgroup_id_y 0
		.amdhsa_system_sgpr_workgroup_id_z 0
		.amdhsa_system_sgpr_workgroup_info 0
		.amdhsa_system_vgpr_workitem_id 0
		.amdhsa_next_free_vgpr 256
		.amdhsa_next_free_sgpr 14
		.amdhsa_reserve_vcc 1
		.amdhsa_float_round_mode_32 0
		.amdhsa_float_round_mode_16_64 0
		.amdhsa_float_denorm_mode_32 3
		.amdhsa_float_denorm_mode_16_64 3
		.amdhsa_dx10_clamp 1
		.amdhsa_ieee_mode 1
		.amdhsa_fp16_overflow 0
		.amdhsa_workgroup_processor_mode 1
		.amdhsa_memory_ordered 1
		.amdhsa_forward_progress 1
		.amdhsa_shared_vgpr_count 0
		.amdhsa_inst_pref_size 63
		.amdhsa_exception_fp_ieee_invalid_op 0
		.amdhsa_exception_fp_denorm_src 0
		.amdhsa_exception_fp_ieee_div_zero 0
		.amdhsa_exception_fp_ieee_overflow 0
		.amdhsa_exception_fp_ieee_underflow 0
		.amdhsa_exception_fp_ieee_inexact 0
		.amdhsa_exception_int_div_zero 0
	.end_amdhsa_kernel
	.text
.Lfunc_end0:
	.size	indirect_matmul_kernel, .Lfunc_end0-indirect_matmul_kernel
	.cfi_endproc
                                        ; -- End function
	.set indirect_matmul_kernel.num_vgpr, 256
	.set indirect_matmul_kernel.num_agpr, 0
	.set indirect_matmul_kernel.numbered_sgpr, 14
	.set indirect_matmul_kernel.num_named_barrier, 0
	.set indirect_matmul_kernel.private_seg_size, 116
	.set indirect_matmul_kernel.uses_vcc, 1
	.set indirect_matmul_kernel.uses_flat_scratch, 1
	.set indirect_matmul_kernel.has_dyn_sized_stack, 0
	.set indirect_matmul_kernel.has_recursion, 0
	.set indirect_matmul_kernel.has_indirect_call, 0
	.section	.AMDGPU.csdata,"",@progbits
; Kernel info:
; codeLenInByte = 20816
; TotalNumSgprs: 16
; NumVgprs: 256
; ScratchSize: 116
; MemoryBound: 0
; FloatMode: 240
; IeeeMode: 1
; LDSByteSize: 0 bytes/workgroup (compile time only)
; SGPRBlocks: 0
; VGPRBlocks: 31
; NumSGPRsForWavesPerEU: 16
; NumVGPRsForWavesPerEU: 256
; Occupancy: 5
; WaveLimiterHint : 1
; COMPUTE_PGM_RSRC2:SCRATCH_EN: 1
; COMPUTE_PGM_RSRC2:USER_SGPR: 15
; COMPUTE_PGM_RSRC2:TRAP_HANDLER: 0
; COMPUTE_PGM_RSRC2:TGID_X_EN: 1
; COMPUTE_PGM_RSRC2:TGID_Y_EN: 0
; COMPUTE_PGM_RSRC2:TGID_Z_EN: 0
; COMPUTE_PGM_RSRC2:TIDIG_COMP_CNT: 0
	.text
	.p2alignl 7, 3214868480
	.fill 96, 4, 3214868480
	.section	.AMDGPU.gpr_maximums,"",@progbits
	.set amdgpu.max_num_vgpr, 0
	.set amdgpu.max_num_agpr, 0
	.set amdgpu.max_num_sgpr, 0
	.set amdgpu.max_num_named_barrier, 0
	.text
	.section	.debug_abbrev,"",@progbits
	.byte	1                               ; Abbreviation Code
	.byte	17                              ; DW_TAG_compile_unit
	.byte	0                               ; DW_CHILDREN_no
	.byte	37                              ; DW_AT_producer
	.byte	14                              ; DW_FORM_strp
	.byte	19                              ; DW_AT_language
	.byte	5                               ; DW_FORM_data2
	.byte	3                               ; DW_AT_name
	.byte	14                              ; DW_FORM_strp
	.byte	16                              ; DW_AT_stmt_list
	.byte	23                              ; DW_FORM_sec_offset
	.byte	27                              ; DW_AT_comp_dir
	.byte	14                              ; DW_FORM_strp
	.byte	17                              ; DW_AT_low_pc
	.byte	1                               ; DW_FORM_addr
	.byte	18                              ; DW_AT_high_pc
	.byte	6                               ; DW_FORM_data4
	.byte	0                               ; EOM(1)
	.byte	0                               ; EOM(2)
	;; [unrolled: 1-line block ×3, first 2 shown]
	.section	.debug_info,"",@progbits
.Lcu_begin0:
	.long	.Ldebug_info_end0-.Ldebug_info_start0 ; Length of Unit
.Ldebug_info_start0:
	.short	4                               ; DWARF version number
	.long	.debug_abbrev                   ; Offset Into Abbrev. Section
	.byte	8                               ; Address Size (in bytes)
	.byte	1                               ; Abbrev [1] 0xb:0x1f DW_TAG_compile_unit
	.long	.Linfo_string0                  ; DW_AT_producer
	.short	2                               ; DW_AT_language
	.long	.Linfo_string1                  ; DW_AT_name
	.long	.Lline_table_start0             ; DW_AT_stmt_list
	.long	.Linfo_string2                  ; DW_AT_comp_dir
	.quad	.Lfunc_begin0                   ; DW_AT_low_pc
	.long	.Lfunc_end0-.Lfunc_begin0       ; DW_AT_high_pc
.Ldebug_info_end0:
	.section	.debug_str,"MS",@progbits,1
.Linfo_string0:
	.asciz	"triton"                        ; string offset=0
.Linfo_string1:
	.asciz	"indirect_matmul.py"            ; string offset=7
.Linfo_string2:
	.asciz	"/root/src/amdgpu-assembly/repos/triton-lang__triton-aot" ; string offset=26
	.section	".note.GNU-stack","",@progbits
	.amdgpu_metadata
---
amdhsa.kernels:
  - .args:
      - .address_space:  global
        .offset:         0
        .size:           8
        .value_kind:     global_buffer
      - .offset:         8
        .size:           4
        .value_kind:     by_value
      - .address_space:  global
        .offset:         16
        .size:           8
        .value_kind:     global_buffer
      - .offset:         24
        .size:           4
        .value_kind:     by_value
      - .address_space:  global
        .offset:         32
        .size:           8
        .value_kind:     global_buffer
      - .offset:         40
        .size:           4
        .value_kind:     by_value
      - .address_space:  global
        .offset:         48
        .size:           8
        .value_kind:     global_buffer
      - .offset:         56
        .size:           4
        .value_kind:     by_value
      - .address_space:  global
        .offset:         64
        .size:           8
        .value_kind:     global_buffer
      - .address_space:  global
        .offset:         72
        .size:           8
        .value_kind:     global_buffer
    .group_segment_fixed_size: 0
    .kernarg_segment_align: 8
    .kernarg_segment_size: 80
    .max_flat_workgroup_size: 256
    .name:           indirect_matmul_kernel
    .private_segment_fixed_size: 116
    .sgpr_count:     16
    .sgpr_spill_count: 0
    .symbol:         indirect_matmul_kernel.kd
    .uniform_work_group_size: 1
    .uses_dynamic_stack: false
    .vgpr_count:     256
    .vgpr_spill_count: 35
    .wavefront_size: 32
    .workgroup_processor_mode: 1
amdhsa.target:   amdgcn-amd-amdhsa--gfx1100
amdhsa.version:
  - 1
  - 2
...

	.end_amdgpu_metadata
	.section	.debug_line,"",@progbits
.Lline_table_start0:
